;; amdgpu-corpus repo=ROCm/rocFFT kind=compiled arch=gfx1201 opt=O3
	.text
	.amdgcn_target "amdgcn-amd-amdhsa--gfx1201"
	.amdhsa_code_object_version 6
	.protected	fft_rtc_back_len1440_factors_10_16_3_3_wgs_90_tpt_90_halfLds_dp_ip_CI_sbrr_dirReg ; -- Begin function fft_rtc_back_len1440_factors_10_16_3_3_wgs_90_tpt_90_halfLds_dp_ip_CI_sbrr_dirReg
	.globl	fft_rtc_back_len1440_factors_10_16_3_3_wgs_90_tpt_90_halfLds_dp_ip_CI_sbrr_dirReg
	.p2align	8
	.type	fft_rtc_back_len1440_factors_10_16_3_3_wgs_90_tpt_90_halfLds_dp_ip_CI_sbrr_dirReg,@function
fft_rtc_back_len1440_factors_10_16_3_3_wgs_90_tpt_90_halfLds_dp_ip_CI_sbrr_dirReg: ; @fft_rtc_back_len1440_factors_10_16_3_3_wgs_90_tpt_90_halfLds_dp_ip_CI_sbrr_dirReg
; %bb.0:
	s_clause 0x2
	s_load_b64 s[12:13], s[0:1], 0x18
	s_load_b128 s[4:7], s[0:1], 0x0
	s_load_b64 s[10:11], s[0:1], 0x50
	v_mul_u32_u24_e32 v1, 0x2d9, v0
	v_mov_b32_e32 v3, 0
	s_delay_alu instid0(VALU_DEP_2) | instskip(NEXT) | instid1(VALU_DEP_1)
	v_lshrrev_b32_e32 v1, 16, v1
	v_add_nc_u32_e32 v5, ttmp9, v1
	v_mov_b32_e32 v1, 0
	v_mov_b32_e32 v2, 0
	;; [unrolled: 1-line block ×3, first 2 shown]
	s_wait_kmcnt 0x0
	s_load_b64 s[8:9], s[12:13], 0x0
	v_cmp_lt_u64_e64 s2, s[6:7], 2
	s_delay_alu instid0(VALU_DEP_1)
	s_and_b32 vcc_lo, exec_lo, s2
	s_cbranch_vccnz .LBB0_8
; %bb.1:
	s_load_b64 s[2:3], s[0:1], 0x10
	v_mov_b32_e32 v1, 0
	v_mov_b32_e32 v2, 0
	s_add_nc_u64 s[14:15], s[12:13], 8
	s_mov_b64 s[16:17], 1
	s_wait_kmcnt 0x0
	s_add_nc_u64 s[18:19], s[2:3], 8
	s_mov_b32 s3, 0
.LBB0_2:                                ; =>This Inner Loop Header: Depth=1
	s_load_b64 s[20:21], s[18:19], 0x0
                                        ; implicit-def: $vgpr7_vgpr8
	s_mov_b32 s2, exec_lo
	s_wait_kmcnt 0x0
	v_or_b32_e32 v4, s21, v6
	s_delay_alu instid0(VALU_DEP_1)
	v_cmpx_ne_u64_e32 0, v[3:4]
	s_wait_alu 0xfffe
	s_xor_b32 s22, exec_lo, s2
	s_cbranch_execz .LBB0_4
; %bb.3:                                ;   in Loop: Header=BB0_2 Depth=1
	s_cvt_f32_u32 s2, s20
	s_cvt_f32_u32 s23, s21
	s_sub_nc_u64 s[26:27], 0, s[20:21]
	s_wait_alu 0xfffe
	s_delay_alu instid0(SALU_CYCLE_1) | instskip(SKIP_1) | instid1(SALU_CYCLE_2)
	s_fmamk_f32 s2, s23, 0x4f800000, s2
	s_wait_alu 0xfffe
	v_s_rcp_f32 s2, s2
	s_delay_alu instid0(TRANS32_DEP_1) | instskip(SKIP_1) | instid1(SALU_CYCLE_2)
	s_mul_f32 s2, s2, 0x5f7ffffc
	s_wait_alu 0xfffe
	s_mul_f32 s23, s2, 0x2f800000
	s_wait_alu 0xfffe
	s_delay_alu instid0(SALU_CYCLE_2) | instskip(SKIP_1) | instid1(SALU_CYCLE_2)
	s_trunc_f32 s23, s23
	s_wait_alu 0xfffe
	s_fmamk_f32 s2, s23, 0xcf800000, s2
	s_cvt_u32_f32 s25, s23
	s_wait_alu 0xfffe
	s_delay_alu instid0(SALU_CYCLE_1) | instskip(SKIP_1) | instid1(SALU_CYCLE_2)
	s_cvt_u32_f32 s24, s2
	s_wait_alu 0xfffe
	s_mul_u64 s[28:29], s[26:27], s[24:25]
	s_wait_alu 0xfffe
	s_mul_hi_u32 s31, s24, s29
	s_mul_i32 s30, s24, s29
	s_mul_hi_u32 s2, s24, s28
	s_mul_i32 s33, s25, s28
	s_wait_alu 0xfffe
	s_add_nc_u64 s[30:31], s[2:3], s[30:31]
	s_mul_hi_u32 s23, s25, s28
	s_mul_hi_u32 s34, s25, s29
	s_add_co_u32 s2, s30, s33
	s_wait_alu 0xfffe
	s_add_co_ci_u32 s2, s31, s23
	s_mul_i32 s28, s25, s29
	s_add_co_ci_u32 s29, s34, 0
	s_wait_alu 0xfffe
	s_add_nc_u64 s[28:29], s[2:3], s[28:29]
	s_wait_alu 0xfffe
	v_add_co_u32 v4, s2, s24, s28
	s_delay_alu instid0(VALU_DEP_1) | instskip(SKIP_1) | instid1(VALU_DEP_1)
	s_cmp_lg_u32 s2, 0
	s_add_co_ci_u32 s25, s25, s29
	v_readfirstlane_b32 s24, v4
	s_wait_alu 0xfffe
	s_delay_alu instid0(VALU_DEP_1)
	s_mul_u64 s[26:27], s[26:27], s[24:25]
	s_wait_alu 0xfffe
	s_mul_hi_u32 s29, s24, s27
	s_mul_i32 s28, s24, s27
	s_mul_hi_u32 s2, s24, s26
	s_mul_i32 s30, s25, s26
	s_wait_alu 0xfffe
	s_add_nc_u64 s[28:29], s[2:3], s[28:29]
	s_mul_hi_u32 s23, s25, s26
	s_mul_hi_u32 s24, s25, s27
	s_wait_alu 0xfffe
	s_add_co_u32 s2, s28, s30
	s_add_co_ci_u32 s2, s29, s23
	s_mul_i32 s26, s25, s27
	s_add_co_ci_u32 s27, s24, 0
	s_wait_alu 0xfffe
	s_add_nc_u64 s[26:27], s[2:3], s[26:27]
	s_wait_alu 0xfffe
	v_add_co_u32 v4, s2, v4, s26
	s_delay_alu instid0(VALU_DEP_1) | instskip(SKIP_1) | instid1(VALU_DEP_1)
	s_cmp_lg_u32 s2, 0
	s_add_co_ci_u32 s2, s25, s27
	v_mul_hi_u32 v13, v5, v4
	s_wait_alu 0xfffe
	v_mad_co_u64_u32 v[7:8], null, v5, s2, 0
	v_mad_co_u64_u32 v[9:10], null, v6, v4, 0
	;; [unrolled: 1-line block ×3, first 2 shown]
	s_delay_alu instid0(VALU_DEP_3) | instskip(SKIP_1) | instid1(VALU_DEP_4)
	v_add_co_u32 v4, vcc_lo, v13, v7
	s_wait_alu 0xfffd
	v_add_co_ci_u32_e32 v7, vcc_lo, 0, v8, vcc_lo
	s_delay_alu instid0(VALU_DEP_2) | instskip(SKIP_1) | instid1(VALU_DEP_2)
	v_add_co_u32 v4, vcc_lo, v4, v9
	s_wait_alu 0xfffd
	v_add_co_ci_u32_e32 v4, vcc_lo, v7, v10, vcc_lo
	s_wait_alu 0xfffd
	v_add_co_ci_u32_e32 v7, vcc_lo, 0, v12, vcc_lo
	s_delay_alu instid0(VALU_DEP_2) | instskip(SKIP_1) | instid1(VALU_DEP_2)
	v_add_co_u32 v4, vcc_lo, v4, v11
	s_wait_alu 0xfffd
	v_add_co_ci_u32_e32 v9, vcc_lo, 0, v7, vcc_lo
	s_delay_alu instid0(VALU_DEP_2) | instskip(SKIP_1) | instid1(VALU_DEP_3)
	v_mul_lo_u32 v10, s21, v4
	v_mad_co_u64_u32 v[7:8], null, s20, v4, 0
	v_mul_lo_u32 v11, s20, v9
	s_delay_alu instid0(VALU_DEP_2) | instskip(NEXT) | instid1(VALU_DEP_2)
	v_sub_co_u32 v7, vcc_lo, v5, v7
	v_add3_u32 v8, v8, v11, v10
	s_delay_alu instid0(VALU_DEP_1) | instskip(SKIP_1) | instid1(VALU_DEP_1)
	v_sub_nc_u32_e32 v10, v6, v8
	s_wait_alu 0xfffd
	v_subrev_co_ci_u32_e64 v10, s2, s21, v10, vcc_lo
	v_add_co_u32 v11, s2, v4, 2
	s_wait_alu 0xf1ff
	v_add_co_ci_u32_e64 v12, s2, 0, v9, s2
	v_sub_co_u32 v13, s2, v7, s20
	v_sub_co_ci_u32_e32 v8, vcc_lo, v6, v8, vcc_lo
	s_wait_alu 0xf1ff
	v_subrev_co_ci_u32_e64 v10, s2, 0, v10, s2
	s_delay_alu instid0(VALU_DEP_3) | instskip(NEXT) | instid1(VALU_DEP_3)
	v_cmp_le_u32_e32 vcc_lo, s20, v13
	v_cmp_eq_u32_e64 s2, s21, v8
	s_wait_alu 0xfffd
	v_cndmask_b32_e64 v13, 0, -1, vcc_lo
	v_cmp_le_u32_e32 vcc_lo, s21, v10
	s_wait_alu 0xfffd
	v_cndmask_b32_e64 v14, 0, -1, vcc_lo
	v_cmp_le_u32_e32 vcc_lo, s20, v7
	;; [unrolled: 3-line block ×3, first 2 shown]
	s_wait_alu 0xfffd
	v_cndmask_b32_e64 v15, 0, -1, vcc_lo
	v_cmp_eq_u32_e32 vcc_lo, s21, v10
	s_wait_alu 0xf1ff
	s_delay_alu instid0(VALU_DEP_2)
	v_cndmask_b32_e64 v7, v15, v7, s2
	s_wait_alu 0xfffd
	v_cndmask_b32_e32 v10, v14, v13, vcc_lo
	v_add_co_u32 v13, vcc_lo, v4, 1
	s_wait_alu 0xfffd
	v_add_co_ci_u32_e32 v14, vcc_lo, 0, v9, vcc_lo
	s_delay_alu instid0(VALU_DEP_3) | instskip(SKIP_2) | instid1(VALU_DEP_3)
	v_cmp_ne_u32_e32 vcc_lo, 0, v10
	s_wait_alu 0xfffd
	v_cndmask_b32_e32 v10, v13, v11, vcc_lo
	v_cndmask_b32_e32 v8, v14, v12, vcc_lo
	v_cmp_ne_u32_e32 vcc_lo, 0, v7
	s_wait_alu 0xfffd
	s_delay_alu instid0(VALU_DEP_2)
	v_dual_cndmask_b32 v7, v4, v10 :: v_dual_cndmask_b32 v8, v9, v8
.LBB0_4:                                ;   in Loop: Header=BB0_2 Depth=1
	s_wait_alu 0xfffe
	s_and_not1_saveexec_b32 s2, s22
	s_cbranch_execz .LBB0_6
; %bb.5:                                ;   in Loop: Header=BB0_2 Depth=1
	v_cvt_f32_u32_e32 v4, s20
	s_sub_co_i32 s22, 0, s20
	s_delay_alu instid0(VALU_DEP_1) | instskip(NEXT) | instid1(TRANS32_DEP_1)
	v_rcp_iflag_f32_e32 v4, v4
	v_mul_f32_e32 v4, 0x4f7ffffe, v4
	s_delay_alu instid0(VALU_DEP_1) | instskip(SKIP_1) | instid1(VALU_DEP_1)
	v_cvt_u32_f32_e32 v4, v4
	s_wait_alu 0xfffe
	v_mul_lo_u32 v7, s22, v4
	s_delay_alu instid0(VALU_DEP_1) | instskip(NEXT) | instid1(VALU_DEP_1)
	v_mul_hi_u32 v7, v4, v7
	v_add_nc_u32_e32 v4, v4, v7
	s_delay_alu instid0(VALU_DEP_1) | instskip(NEXT) | instid1(VALU_DEP_1)
	v_mul_hi_u32 v4, v5, v4
	v_mul_lo_u32 v7, v4, s20
	v_add_nc_u32_e32 v8, 1, v4
	s_delay_alu instid0(VALU_DEP_2) | instskip(NEXT) | instid1(VALU_DEP_1)
	v_sub_nc_u32_e32 v7, v5, v7
	v_subrev_nc_u32_e32 v9, s20, v7
	v_cmp_le_u32_e32 vcc_lo, s20, v7
	s_wait_alu 0xfffd
	s_delay_alu instid0(VALU_DEP_2) | instskip(NEXT) | instid1(VALU_DEP_1)
	v_dual_cndmask_b32 v7, v7, v9 :: v_dual_cndmask_b32 v4, v4, v8
	v_cmp_le_u32_e32 vcc_lo, s20, v7
	s_delay_alu instid0(VALU_DEP_2) | instskip(SKIP_1) | instid1(VALU_DEP_1)
	v_add_nc_u32_e32 v8, 1, v4
	s_wait_alu 0xfffd
	v_dual_cndmask_b32 v7, v4, v8 :: v_dual_mov_b32 v8, v3
.LBB0_6:                                ;   in Loop: Header=BB0_2 Depth=1
	s_wait_alu 0xfffe
	s_or_b32 exec_lo, exec_lo, s2
	s_load_b64 s[22:23], s[14:15], 0x0
	s_delay_alu instid0(VALU_DEP_1)
	v_mul_lo_u32 v4, v8, s20
	v_mul_lo_u32 v11, v7, s21
	v_mad_co_u64_u32 v[9:10], null, v7, s20, 0
	s_add_nc_u64 s[16:17], s[16:17], 1
	s_add_nc_u64 s[14:15], s[14:15], 8
	s_wait_alu 0xfffe
	v_cmp_ge_u64_e64 s2, s[16:17], s[6:7]
	s_add_nc_u64 s[18:19], s[18:19], 8
	s_delay_alu instid0(VALU_DEP_2) | instskip(NEXT) | instid1(VALU_DEP_3)
	v_add3_u32 v4, v10, v11, v4
	v_sub_co_u32 v5, vcc_lo, v5, v9
	s_wait_alu 0xfffd
	s_delay_alu instid0(VALU_DEP_2) | instskip(SKIP_3) | instid1(VALU_DEP_2)
	v_sub_co_ci_u32_e32 v4, vcc_lo, v6, v4, vcc_lo
	s_and_b32 vcc_lo, exec_lo, s2
	s_wait_kmcnt 0x0
	v_mul_lo_u32 v6, s23, v5
	v_mul_lo_u32 v4, s22, v4
	v_mad_co_u64_u32 v[1:2], null, s22, v5, v[1:2]
	s_delay_alu instid0(VALU_DEP_1)
	v_add3_u32 v2, v6, v2, v4
	s_wait_alu 0xfffe
	s_cbranch_vccnz .LBB0_9
; %bb.7:                                ;   in Loop: Header=BB0_2 Depth=1
	v_dual_mov_b32 v5, v7 :: v_dual_mov_b32 v6, v8
	s_branch .LBB0_2
.LBB0_8:
	v_dual_mov_b32 v8, v6 :: v_dual_mov_b32 v7, v5
.LBB0_9:
	s_lshl_b64 s[2:3], s[6:7], 3
	v_mul_hi_u32 v5, 0x2d82d83, v0
	s_wait_alu 0xfffe
	s_add_nc_u64 s[2:3], s[12:13], s[2:3]
                                        ; implicit-def: $vgpr12_vgpr13
                                        ; implicit-def: $vgpr16_vgpr17
                                        ; implicit-def: $vgpr32_vgpr33
                                        ; implicit-def: $vgpr36_vgpr37
                                        ; implicit-def: $vgpr24_vgpr25
                                        ; implicit-def: $vgpr20_vgpr21
                                        ; implicit-def: $vgpr48_vgpr49
                                        ; implicit-def: $vgpr40_vgpr41
                                        ; implicit-def: $vgpr56_vgpr57
                                        ; implicit-def: $vgpr52_vgpr53
                                        ; implicit-def: $vgpr76_vgpr77
                                        ; implicit-def: $vgpr64_vgpr65
                                        ; implicit-def: $vgpr60_vgpr61
                                        ; implicit-def: $vgpr72_vgpr73
                                        ; implicit-def: $vgpr68_vgpr69
                                        ; implicit-def: $vgpr80_vgpr81
                                        ; implicit-def: $vgpr28_vgpr29
                                        ; implicit-def: $vgpr44_vgpr45
	s_load_b64 s[2:3], s[2:3], 0x0
	s_load_b64 s[0:1], s[0:1], 0x20
	s_wait_kmcnt 0x0
	v_mul_lo_u32 v3, s2, v8
	v_mul_lo_u32 v4, s3, v7
	v_mad_co_u64_u32 v[1:2], null, s2, v7, v[1:2]
	v_cmp_gt_u64_e32 vcc_lo, s[0:1], v[7:8]
                                        ; implicit-def: $vgpr8_vgpr9
	s_delay_alu instid0(VALU_DEP_2) | instskip(SKIP_1) | instid1(VALU_DEP_2)
	v_add3_u32 v2, v4, v2, v3
	v_mul_u32_u24_e32 v3, 0x5a, v5
                                        ; implicit-def: $vgpr4_vgpr5
	v_lshlrev_b64_e32 v[96:97], 4, v[1:2]
	s_delay_alu instid0(VALU_DEP_2)
	v_sub_nc_u32_e32 v126, v0, v3
	s_and_saveexec_b32 s1, vcc_lo
	s_cbranch_execz .LBB0_13
; %bb.10:
	s_delay_alu instid0(VALU_DEP_1) | instskip(SKIP_3) | instid1(VALU_DEP_4)
	v_add_nc_u32_e32 v8, 0x90, v126
	v_add_nc_u32_e32 v12, 0x1b0, v126
	v_mad_co_u64_u32 v[0:1], null, s8, v126, 0
	v_add_nc_u32_e32 v15, 0x240, v126
	v_mad_co_u64_u32 v[2:3], null, s8, v8, 0
	s_delay_alu instid0(VALU_DEP_4) | instskip(SKIP_1) | instid1(VALU_DEP_4)
	v_mad_co_u64_u32 v[10:11], null, s8, v12, 0
	v_add_nc_u32_e32 v9, 0x120, v126
	v_mad_co_u64_u32 v[18:19], null, s8, v15, 0
	v_add_nc_u32_e32 v17, 0x2d0, v126
	v_mad_co_u64_u32 v[6:7], null, s9, v126, v[1:2]
	s_delay_alu instid0(VALU_DEP_4) | instskip(SKIP_1) | instid1(VALU_DEP_4)
	v_mad_co_u64_u32 v[4:5], null, s8, v9, 0
	v_mov_b32_e32 v1, v3
	v_mad_co_u64_u32 v[20:21], null, s8, v17, 0
	v_dual_mov_b32 v14, v19 :: v_dual_add_nc_u32 v27, 0x360, v126
	s_delay_alu instid0(VALU_DEP_3) | instskip(SKIP_2) | instid1(VALU_DEP_4)
	v_mad_co_u64_u32 v[7:8], null, s9, v8, v[1:2]
	v_mov_b32_e32 v3, v5
	v_mov_b32_e32 v1, v6
	v_mad_co_u64_u32 v[14:15], null, s9, v15, v[14:15]
	v_add_nc_u32_e32 v29, 0x3f0, v126
	s_delay_alu instid0(VALU_DEP_4) | instskip(NEXT) | instid1(VALU_DEP_4)
	v_mad_co_u64_u32 v[5:6], null, s9, v9, v[3:4]
	v_lshlrev_b64_e32 v[8:9], 4, v[0:1]
	v_add_co_u32 v0, s0, s10, v96
	s_wait_alu 0xf1ff
	v_add_co_ci_u32_e64 v1, s0, s11, v97, s0
	v_dual_mov_b32 v3, v7 :: v_dual_mov_b32 v6, v11
	s_delay_alu instid0(VALU_DEP_3) | instskip(SKIP_1) | instid1(VALU_DEP_3)
	v_add_co_u32 v7, s0, v0, v8
	s_wait_alu 0xf1ff
	v_add_co_ci_u32_e64 v8, s0, v1, v9, s0
	s_delay_alu instid0(VALU_DEP_3) | instskip(NEXT) | instid1(VALU_DEP_3)
	v_lshlrev_b64_e32 v[2:3], 4, v[2:3]
	v_mad_co_u64_u32 v[11:12], null, s9, v12, v[6:7]
	v_lshlrev_b64_e32 v[12:13], 4, v[4:5]
	v_mad_co_u64_u32 v[22:23], null, s8, v27, 0
	s_delay_alu instid0(VALU_DEP_4)
	v_add_co_u32 v2, s0, v0, v2
	s_wait_alu 0xf1ff
	v_add_co_ci_u32_e64 v3, s0, v1, v3, s0
	v_lshlrev_b64_e32 v[10:11], 4, v[10:11]
	v_add_co_u32 v12, s0, v0, v12
	s_wait_alu 0xf1ff
	v_add_co_ci_u32_e64 v13, s0, v1, v13, s0
	v_or_b32_e32 v32, 0x480, v126
	s_delay_alu instid0(VALU_DEP_4) | instskip(SKIP_4) | instid1(VALU_DEP_3)
	v_add_co_u32 v15, s0, v0, v10
	v_dual_mov_b32 v10, v21 :: v_dual_add_nc_u32 v33, 0x510, v126
	v_mov_b32_e32 v19, v14
	s_wait_alu 0xf1ff
	v_add_co_ci_u32_e64 v16, s0, v1, v11, s0
	v_mad_co_u64_u32 v[24:25], null, s9, v17, v[10:11]
	v_mad_co_u64_u32 v[25:26], null, s8, v29, 0
	v_lshlrev_b64_e32 v[18:19], 4, v[18:19]
	s_clause 0x3
	global_load_b128 v[6:9], v[7:8], off
	global_load_b128 v[2:5], v[2:3], off
	;; [unrolled: 1-line block ×4, first 2 shown]
	s_mov_b32 s2, exec_lo
	v_mov_b32_e32 v21, v24
	v_mad_co_u64_u32 v[23:24], null, s9, v27, v[23:24]
	v_mov_b32_e32 v24, v26
	v_mad_co_u64_u32 v[27:28], null, s8, v32, 0
	s_delay_alu instid0(VALU_DEP_4) | instskip(SKIP_1) | instid1(VALU_DEP_4)
	v_lshlrev_b64_e32 v[20:21], 4, v[20:21]
	v_add_co_u32 v18, s0, v0, v18
	v_mad_co_u64_u32 v[29:30], null, s9, v29, v[24:25]
	v_mad_co_u64_u32 v[30:31], null, s8, v33, 0
	v_mov_b32_e32 v24, v28
	v_lshlrev_b64_e32 v[22:23], 4, v[22:23]
	s_wait_alu 0xf1ff
	v_add_co_ci_u32_e64 v19, s0, v1, v19, s0
	v_mov_b32_e32 v26, v29
	v_mad_co_u64_u32 v[28:29], null, s9, v32, v[24:25]
	v_mov_b32_e32 v24, v31
	v_add_co_u32 v20, s0, v0, v20
	s_wait_alu 0xf1ff
	v_add_co_ci_u32_e64 v21, s0, v1, v21, s0
	s_delay_alu instid0(VALU_DEP_3)
	v_mad_co_u64_u32 v[31:32], null, s9, v33, v[24:25]
	v_lshlrev_b64_e32 v[24:25], 4, v[25:26]
	v_add_co_u32 v22, s0, v0, v22
	v_lshlrev_b64_e32 v[26:27], 4, v[27:28]
	s_wait_alu 0xf1ff
	v_add_co_ci_u32_e64 v23, s0, v1, v23, s0
	s_delay_alu instid0(VALU_DEP_4)
	v_add_co_u32 v24, s0, v0, v24
	v_lshlrev_b64_e32 v[28:29], 4, v[30:31]
	s_wait_alu 0xf1ff
	v_add_co_ci_u32_e64 v25, s0, v1, v25, s0
	v_add_co_u32 v26, s0, v0, v26
	s_wait_alu 0xf1ff
	v_add_co_ci_u32_e64 v27, s0, v1, v27, s0
	v_add_co_u32 v28, s0, v0, v28
	s_wait_alu 0xf1ff
	v_add_co_ci_u32_e64 v29, s0, v1, v29, s0
	s_clause 0x5
	global_load_b128 v[30:33], v[18:19], off
	global_load_b128 v[34:37], v[20:21], off
	;; [unrolled: 1-line block ×6, first 2 shown]
                                        ; implicit-def: $vgpr78_vgpr79
                                        ; implicit-def: $vgpr66_vgpr67
                                        ; implicit-def: $vgpr70_vgpr71
                                        ; implicit-def: $vgpr58_vgpr59
                                        ; implicit-def: $vgpr62_vgpr63
                                        ; implicit-def: $vgpr74_vgpr75
                                        ; implicit-def: $vgpr50_vgpr51
                                        ; implicit-def: $vgpr54_vgpr55
                                        ; implicit-def: $vgpr38_vgpr39
                                        ; implicit-def: $vgpr46_vgpr47
	v_cmpx_gt_u32_e32 54, v126
	s_cbranch_execz .LBB0_12
; %bb.11:
	v_add_nc_u32_e32 v52, 0xea, v126
	v_add_nc_u32_e32 v57, 0x32a, v126
	v_add_nc_u32_e32 v67, 0x3ba, v126
	v_add_nc_u32_e32 v69, 0x44a, v126
	v_add_nc_u32_e32 v73, 0x56a, v126
	v_mad_co_u64_u32 v[40:41], null, s8, v52, 0
	v_mad_co_u64_u32 v[60:61], null, s8, v57, 0
	;; [unrolled: 1-line block ×3, first 2 shown]
	v_add_nc_u32_e32 v72, 0x4da, v126
	s_wait_loadcnt 0x3
	s_delay_alu instid0(VALU_DEP_4) | instskip(NEXT) | instid1(VALU_DEP_1)
	v_mad_co_u64_u32 v[52:53], null, s9, v52, v[41:42]
	v_dual_mov_b32 v41, v52 :: v_dual_add_nc_u32 v56, 0x29a, v126
	s_delay_alu instid0(VALU_DEP_1) | instskip(SKIP_1) | instid1(VALU_DEP_1)
	v_mad_co_u64_u32 v[58:59], null, s8, v56, 0
	v_add_nc_u32_e32 v55, 0x20a, v126
	v_mad_co_u64_u32 v[50:51], null, s8, v55, 0
	v_add_nc_u32_e32 v54, 0x17a, v126
	s_delay_alu instid0(VALU_DEP_1) | instskip(SKIP_1) | instid1(VALU_DEP_1)
	v_mad_co_u64_u32 v[46:47], null, s8, v54, 0
	v_add_nc_u32_e32 v48, 0x5a, v126
	v_mad_co_u64_u32 v[38:39], null, s8, v48, 0
	s_delay_alu instid0(VALU_DEP_1) | instskip(NEXT) | instid1(VALU_DEP_4)
	v_mad_co_u64_u32 v[48:49], null, s9, v48, v[39:40]
	v_mov_b32_e32 v39, v47
	v_mov_b32_e32 v47, v51
	s_delay_alu instid0(VALU_DEP_2) | instskip(SKIP_1) | instid1(VALU_DEP_3)
	v_mad_co_u64_u32 v[53:54], null, s9, v54, v[39:40]
	v_mov_b32_e32 v54, v59
	v_mad_co_u64_u32 v[51:52], null, s9, v55, v[47:48]
	v_mov_b32_e32 v39, v48
	v_lshlrev_b64_e32 v[40:41], 4, v[40:41]
	s_delay_alu instid0(VALU_DEP_4) | instskip(SKIP_4) | instid1(VALU_DEP_4)
	v_mad_co_u64_u32 v[54:55], null, s9, v56, v[54:55]
	v_mov_b32_e32 v55, v61
	v_mov_b32_e32 v47, v53
	v_lshlrev_b64_e32 v[38:39], 4, v[38:39]
	v_lshlrev_b64_e32 v[50:51], 4, v[50:51]
	v_mad_co_u64_u32 v[64:65], null, s9, v57, v[55:56]
	v_mad_co_u64_u32 v[65:66], null, s8, v69, 0
	s_delay_alu instid0(VALU_DEP_4)
	v_add_co_u32 v38, s0, v0, v38
	v_lshlrev_b64_e32 v[52:53], 4, v[46:47]
	v_mov_b32_e32 v59, v54
	v_mov_b32_e32 v61, v64
	v_mad_co_u64_u32 v[63:64], null, s9, v67, v[63:64]
	v_mov_b32_e32 v64, v66
	v_mad_co_u64_u32 v[67:68], null, s8, v72, 0
	s_wait_alu 0xf1ff
	v_add_co_ci_u32_e64 v39, s0, v1, v39, s0
	s_delay_alu instid0(VALU_DEP_3)
	v_mad_co_u64_u32 v[69:70], null, s9, v69, v[64:65]
	v_mad_co_u64_u32 v[70:71], null, s8, v73, 0
	v_add_co_u32 v40, s0, v0, v40
	v_mov_b32_e32 v64, v68
	s_wait_alu 0xf1ff
	v_add_co_ci_u32_e64 v41, s0, v1, v41, s0
	v_add_co_u32 v52, s0, v0, v52
	v_lshlrev_b64_e32 v[58:59], 4, v[58:59]
	s_wait_alu 0xf1ff
	v_add_co_ci_u32_e64 v53, s0, v1, v53, s0
	v_mov_b32_e32 v66, v69
	v_mad_co_u64_u32 v[68:69], null, s9, v72, v[64:65]
	v_mov_b32_e32 v64, v71
	v_add_co_u32 v50, s0, v0, v50
	v_lshlrev_b64_e32 v[60:61], 4, v[60:61]
	s_wait_alu 0xf1ff
	v_add_co_ci_u32_e64 v51, s0, v1, v51, s0
	v_add_co_u32 v58, s0, v0, v58
	v_lshlrev_b64_e32 v[62:63], 4, v[62:63]
	v_mad_co_u64_u32 v[71:72], null, s9, v73, v[64:65]
	s_wait_alu 0xf1ff
	v_add_co_ci_u32_e64 v59, s0, v1, v59, s0
	v_add_co_u32 v60, s0, v0, v60
	v_lshlrev_b64_e32 v[64:65], 4, v[65:66]
	s_wait_alu 0xf1ff
	v_add_co_ci_u32_e64 v61, s0, v1, v61, s0
	v_add_co_u32 v62, s0, v0, v62
	v_lshlrev_b64_e32 v[66:67], 4, v[67:68]
	;; [unrolled: 4-line block ×3, first 2 shown]
	s_wait_alu 0xf1ff
	v_add_co_ci_u32_e64 v65, s0, v1, v65, s0
	v_add_co_u32 v82, s0, v0, v66
	s_wait_alu 0xf1ff
	v_add_co_ci_u32_e64 v83, s0, v1, v67, s0
	v_add_co_u32 v0, s0, v0, v68
	s_clause 0x3
	global_load_b128 v[46:49], v[38:39], off
	global_load_b128 v[38:41], v[40:41], off
	;; [unrolled: 1-line block ×4, first 2 shown]
	s_wait_alu 0xf1ff
	v_add_co_ci_u32_e64 v1, s0, v1, v69, s0
	s_clause 0x5
	global_load_b128 v[74:77], v[58:59], off
	global_load_b128 v[78:81], v[60:61], off
	;; [unrolled: 1-line block ×6, first 2 shown]
.LBB0_12:
	s_wait_alu 0xfffe
	s_or_b32 exec_lo, exec_lo, s2
.LBB0_13:
	s_wait_alu 0xfffe
	s_or_b32 exec_lo, exec_lo, s1
	s_wait_loadcnt 0x3
	v_add_f64_e32 v[0:1], v[30:31], v[42:43]
	s_wait_loadcnt 0x1
	v_add_f64_e32 v[82:83], v[10:11], v[18:19]
	v_add_f64_e32 v[84:85], v[34:35], v[22:23]
	s_wait_loadcnt 0x0
	v_add_f64_e32 v[86:87], v[14:15], v[26:27]
	v_add_f64_e32 v[88:89], v[36:37], v[24:25]
	;; [unrolled: 1-line block ×3, first 2 shown]
	v_add_f64_e64 v[92:93], v[10:11], -v[30:31]
	v_add_f64_e64 v[94:95], v[18:19], -v[42:43]
	v_add_f64_e32 v[98:99], v[70:71], v[78:79]
	v_add_f64_e64 v[100:101], v[30:31], -v[10:11]
	v_add_f64_e64 v[102:103], v[42:43], -v[18:19]
	;; [unrolled: 1-line block ×6, first 2 shown]
	v_add_f64_e32 v[124:125], v[72:73], v[80:81]
	v_add_f64_e32 v[129:130], v[52:53], v[64:65]
	s_mov_b32 s14, 0x134454ff
	s_mov_b32 s15, 0xbfee6f0e
	;; [unrolled: 1-line block ×4, first 2 shown]
	v_add_f64_e64 v[108:109], v[34:35], -v[14:15]
	v_add_f64_e64 v[110:111], v[22:23], -v[26:27]
	;; [unrolled: 1-line block ×17, first 2 shown]
	v_fma_f64 v[0:1], v[0:1], -0.5, v[6:7]
	v_fma_f64 v[82:83], v[82:83], -0.5, v[6:7]
	;; [unrolled: 1-line block ×5, first 2 shown]
	v_add_f64_e64 v[151:152], v[64:65], -v[72:73]
	v_add_f64_e64 v[153:154], v[80:81], -v[52:53]
	;; [unrolled: 1-line block ×3, first 2 shown]
	v_fma_f64 v[90:91], v[90:91], -0.5, v[4:5]
	v_add_f64_e32 v[157:158], v[50:51], v[62:63]
	v_add_f64_e64 v[159:160], v[52:53], -v[64:65]
	v_fma_f64 v[98:99], v[98:99], -0.5, v[38:39]
	v_add_f64_e32 v[92:93], v[92:93], v[94:95]
	v_add_f64_e64 v[165:166], v[50:51], -v[62:63]
	v_add_f64_e32 v[167:168], v[100:101], v[102:103]
	v_add_f64_e64 v[100:101], v[78:79], -v[70:71]
	v_add_f64_e32 v[104:105], v[104:105], v[106:107]
	v_fma_f64 v[102:103], v[124:125], -0.5, v[40:41]
	v_fma_f64 v[124:125], v[129:130], -0.5, v[40:41]
	s_mov_b32 s16, 0x4755a5e
	s_mov_b32 s17, 0xbfe2cf23
	;; [unrolled: 1-line block ×3, first 2 shown]
	s_wait_alu 0xfffe
	s_mov_b32 s6, s16
	v_add_f64_e32 v[169:170], v[108:109], v[110:111]
	v_add_f64_e32 v[129:130], v[112:113], v[114:115]
	v_add_f64_e64 v[171:172], v[80:81], -v[72:73]
	v_add_f64_e32 v[173:174], v[116:117], v[118:119]
	v_add_f64_e32 v[118:119], v[74:75], v[66:67]
	;; [unrolled: 1-line block ×4, first 2 shown]
	s_mov_b32 s12, 0x372fe950
	s_mov_b32 s13, 0x3fd3c6ef
	v_add_f64_e32 v[108:109], v[137:138], v[139:140]
	v_add_f64_e64 v[161:162], v[74:75], -v[54:55]
	v_add_f64_e32 v[137:138], v[143:144], v[141:142]
	v_add_f64_e64 v[163:164], v[66:67], -v[58:59]
	v_add_f64_e32 v[139:140], v[147:148], v[145:146]
	s_mov_b32 s18, 0x9b97f4a8
	v_fma_f64 v[94:95], v[120:121], s[14:15], v[0:1]
	v_fma_f64 v[0:1], v[120:121], s[2:3], v[0:1]
	v_fma_f64 v[106:107], v[122:123], s[2:3], v[82:83]
	v_fma_f64 v[82:83], v[122:123], s[14:15], v[82:83]
	v_fma_f64 v[112:113], v[127:128], s[14:15], v[84:85]
	v_fma_f64 v[84:85], v[127:128], s[2:3], v[84:85]
	v_fma_f64 v[114:115], v[131:132], s[2:3], v[86:87]
	v_fma_f64 v[86:87], v[131:132], s[14:15], v[86:87]
	v_fma_f64 v[116:117], v[133:134], s[2:3], v[88:89]
	v_fma_f64 v[88:89], v[133:134], s[14:15], v[88:89]
	v_add_f64_e32 v[141:142], v[151:152], v[149:150]
	v_fma_f64 v[143:144], v[135:136], s[14:15], v[90:91]
	v_fma_f64 v[90:91], v[135:136], s[2:3], v[90:91]
	v_fma_f64 v[145:146], v[157:158], -0.5, v[38:39]
	v_add_f64_e32 v[147:148], v[155:156], v[153:154]
	v_fma_f64 v[149:150], v[159:160], s[14:15], v[98:99]
	v_add_f64_e32 v[151:152], v[54:55], v[58:59]
	v_fma_f64 v[98:99], v[159:160], s[2:3], v[98:99]
	v_fma_f64 v[155:156], v[165:166], s[14:15], v[102:103]
	s_mov_b32 s19, 0x3fe9e377
	s_mov_b32 s23, 0xbfe9e377
	;; [unrolled: 1-line block ×5, first 2 shown]
	v_cmp_gt_u32_e64 s0, 54, v126
	v_add_f64_e32 v[2:3], v[2:3], v[34:35]
	v_add_f64_e32 v[110:111], v[161:162], v[163:164]
	v_fma_f64 v[153:154], v[122:123], s[16:17], v[94:95]
	s_wait_alu 0xfffe
	v_fma_f64 v[0:1], v[122:123], s[6:7], v[0:1]
	v_fma_f64 v[94:95], v[165:166], s[2:3], v[102:103]
	;; [unrolled: 1-line block ×11, first 2 shown]
	v_add_f64_e64 v[114:115], v[56:57], -v[60:61]
	v_fma_f64 v[112:113], v[118:119], -0.5, v[46:47]
	v_fma_f64 v[127:128], v[133:134], s[6:7], v[143:144]
	v_fma_f64 v[90:91], v[133:134], s[16:17], v[90:91]
	;; [unrolled: 1-line block ×4, first 2 shown]
	v_add_f64_e64 v[118:119], v[76:77], -v[68:69]
	v_fma_f64 v[116:117], v[151:152], -0.5, v[46:47]
	v_fma_f64 v[135:136], v[171:172], s[14:15], v[145:146]
	v_fma_f64 v[145:146], v[171:172], s[6:7], v[98:99]
	v_add_f64_e32 v[151:152], v[30:31], v[6:7]
	v_fma_f64 v[124:125], v[100:101], s[2:3], v[124:125]
	v_add_f64_e32 v[2:3], v[2:3], v[22:23]
	v_fma_f64 v[153:154], v[92:93], s[12:13], v[153:154]
	v_fma_f64 v[0:1], v[92:93], s[12:13], v[0:1]
	v_fma_f64 v[149:150], v[100:101], s[6:7], v[94:95]
	v_fma_f64 v[157:158], v[167:168], s[12:13], v[122:123]
	v_fma_f64 v[106:107], v[165:166], s[6:7], v[106:107]
	v_fma_f64 v[161:162], v[167:168], s[12:13], v[82:83]
	v_fma_f64 v[92:93], v[104:105], s[12:13], v[120:121]
	v_fma_f64 v[22:23], v[104:105], s[12:13], v[84:85]
	v_fma_f64 v[98:99], v[129:130], s[12:13], v[14:15]
	v_fma_f64 v[94:95], v[129:130], s[12:13], v[88:89]
	v_fma_f64 v[88:89], v[114:115], s[14:15], v[112:113]
	v_fma_f64 v[14:15], v[173:174], s[12:13], v[127:128]
	v_fma_f64 v[102:103], v[173:174], s[12:13], v[90:91]
	v_fma_f64 v[127:128], v[159:160], s[16:17], v[133:134]
	v_fma_f64 v[104:105], v[137:138], s[12:13], v[143:144]
	v_fma_f64 v[90:91], v[118:119], s[2:3], v[116:117]
	v_fma_f64 v[82:83], v[137:138], s[12:13], v[145:146]
	v_add_f64_e32 v[129:130], v[42:43], v[151:152]
	v_fma_f64 v[151:152], v[100:101], s[16:17], v[155:156]
	v_fma_f64 v[155:156], v[165:166], s[16:17], v[124:125]
	;; [unrolled: 1-line block ×3, first 2 shown]
	v_add_f64_e32 v[2:3], v[2:3], v[26:27]
	v_fma_f64 v[6:7], v[141:142], s[12:13], v[149:150]
	v_fma_f64 v[149:150], v[159:160], s[6:7], v[135:136]
	;; [unrolled: 1-line block ×4, first 2 shown]
	v_mul_f64_e32 v[84:85], s[16:17], v[98:99]
	v_mul_f64_e32 v[131:132], s[16:17], v[94:95]
	v_fma_f64 v[88:89], v[118:119], s[16:17], v[88:89]
	v_mul_f64_e32 v[120:121], s[14:15], v[14:15]
	v_mul_f64_e32 v[86:87], s[14:15], v[102:103]
	v_fma_f64 v[124:125], v[114:115], s[16:17], v[90:91]
	v_fma_f64 v[90:91], v[139:140], s[12:13], v[127:128]
	v_add_f64_e32 v[135:136], v[18:19], v[129:130]
	v_mul_f64_e32 v[127:128], s[16:17], v[6:7]
	v_mul_f64_e32 v[133:134], s[14:15], v[34:35]
	v_fma_f64 v[143:144], v[92:93], s[18:19], v[84:85]
	v_fma_f64 v[165:166], v[22:23], s[22:23], v[131:132]
	;; [unrolled: 1-line block ×10, first 2 shown]
	v_add_f64_e32 v[128:129], v[2:3], v[135:136]
	v_fma_f64 v[124:125], v[90:91], s[12:13], v[133:134]
	v_add_f64_e64 v[134:135], v[135:136], -v[2:3]
	v_mul_u32_u24_e32 v127, 10, v126
	v_add_f64_e32 v[130:131], v[143:144], v[153:154]
	v_add_f64_e32 v[132:133], v[165:166], v[0:1]
	v_add_f64_e64 v[146:147], v[0:1], -v[165:166]
	v_add_f64_e64 v[136:137], v[153:154], -v[143:144]
	v_add_f64_e32 v[140:141], v[157:158], v[159:160]
	v_add_f64_e32 v[142:143], v[161:162], v[163:164]
	v_add_f64_e64 v[138:139], v[157:158], -v[159:160]
	v_add_f64_e64 v[144:145], v[161:162], -v[163:164]
	v_lshl_add_u32 v127, v127, 3, 0
	ds_store_b128 v127, v[128:131]
	ds_store_b128 v127, v[140:143] offset:16
	ds_store_b128 v127, v[132:135] offset:32
	;; [unrolled: 1-line block ×4, first 2 shown]
	v_add_f64_e64 v[0:1], v[26:27], -v[120:121]
	v_add_f64_e64 v[2:3], v[122:123], -v[124:125]
	s_and_saveexec_b32 s1, s0
	s_cbranch_execz .LBB0_15
; %bb.14:
	v_add_f64_e32 v[46:47], v[46:47], v[54:55]
	v_add_f64_e32 v[38:39], v[38:39], v[50:51]
	v_mul_f64_e32 v[50:51], s[2:3], v[118:119]
	v_mul_f64_e32 v[128:129], s[2:3], v[114:115]
	v_mul_f64_e32 v[118:119], s[6:7], v[118:119]
	v_mul_f64_e32 v[110:111], s[12:13], v[110:111]
	v_mul_f64_e32 v[108:109], s[12:13], v[108:109]
	v_add_f64_e32 v[46:47], v[46:47], v[74:75]
	v_add_f64_e32 v[38:39], v[38:39], v[78:79]
	v_mul_f64_e32 v[78:79], s[6:7], v[114:115]
	v_add_f64_e64 v[50:51], v[116:117], -v[50:51]
	v_add_f64_e32 v[112:113], v[128:129], v[112:113]
	v_mul_f64_e32 v[114:115], s[16:17], v[86:87]
	v_add_f64_e32 v[46:47], v[46:47], v[66:67]
	v_add_f64_e32 v[38:39], v[70:71], v[38:39]
	v_mul_f64_e32 v[70:71], s[14:15], v[88:89]
	v_add_f64_e32 v[50:51], v[78:79], v[50:51]
	v_add_f64_e32 v[78:79], v[118:119], v[112:113]
	v_fma_f64 v[128:129], v[82:83], s[22:23], v[114:115]
	v_add_f64_e32 v[114:115], v[26:27], v[120:121]
	v_add_f64_e32 v[46:47], v[58:59], v[46:47]
	;; [unrolled: 1-line block ×3, first 2 shown]
	v_fma_f64 v[62:63], v[84:85], s[20:21], v[70:71]
	v_add_f64_e32 v[50:51], v[110:111], v[50:51]
	v_add_f64_e32 v[70:71], v[108:109], v[78:79]
	;; [unrolled: 1-line block ×4, first 2 shown]
	v_add_f64_e64 v[118:119], v[46:47], -v[38:39]
	v_add_f64_e32 v[110:111], v[50:51], v[62:63]
	v_add_f64_e32 v[116:117], v[70:71], v[128:129]
	v_add_f64_e64 v[122:123], v[70:71], -v[128:129]
	v_add_f64_e64 v[120:121], v[50:51], -v[62:63]
	ds_store_b128 v127, v[112:115] offset:7200
	ds_store_b128 v127, v[108:111] offset:7216
	;; [unrolled: 1-line block ×5, first 2 shown]
.LBB0_15:
	s_wait_alu 0xfffe
	s_or_b32 exec_lo, exec_lo, s1
	v_add_f64_e32 v[26:27], v[32:33], v[44:45]
	v_add_f64_e32 v[38:39], v[12:13], v[20:21]
	;; [unrolled: 1-line block ×5, first 2 shown]
	v_add_f64_e64 v[10:11], v[10:11], -v[18:19]
	v_add_f64_e32 v[4:5], v[4:5], v[16:17]
	v_add_f64_e64 v[16:17], v[30:31], -v[42:43]
	v_add_f64_e64 v[62:63], v[54:55], -v[58:59]
	;; [unrolled: 1-line block ×7, first 2 shown]
	v_mul_f64_e32 v[98:99], s[18:19], v[98:99]
	v_mul_f64_e32 v[106:107], s[2:3], v[106:107]
	;; [unrolled: 1-line block ×4, first 2 shown]
	global_wb scope:SCOPE_SE
	s_wait_dscnt 0x0
	s_barrier_signal -1
	s_barrier_wait -1
	global_inv scope:SCOPE_SE
	v_add_nc_u32_e32 v116, 0x5a, v126
	v_fma_f64 v[18:19], v[26:27], -0.5, v[8:9]
	v_fma_f64 v[8:9], v[38:39], -0.5, v[8:9]
	v_fma_f64 v[46:47], v[46:47], -0.5, v[48:49]
	v_fma_f64 v[58:59], v[50:51], -0.5, v[48:49]
	v_add_f64_e64 v[26:27], v[12:13], -v[32:33]
	v_add_f64_e64 v[12:13], v[32:33], -v[12:13]
	v_add_f64_e32 v[32:33], v[32:33], v[70:71]
	v_add_f64_e32 v[4:5], v[4:5], v[36:37]
	v_add_f64_e64 v[36:37], v[44:45], -v[20:21]
	v_add_f64_e64 v[50:51], v[56:57], -v[76:77]
	v_add_f64_e32 v[74:75], v[74:75], v[78:79]
	v_fma_f64 v[14:15], v[14:15], s[12:13], v[106:107]
	v_fma_f64 v[78:79], v[100:101], s[2:3], -v[102:103]
	v_fma_f64 v[22:23], v[22:23], s[6:7], -v[94:95]
	v_fma_f64 v[38:39], v[10:11], s[2:3], v[18:19]
	v_fma_f64 v[42:43], v[16:17], s[14:15], v[8:9]
	;; [unrolled: 1-line block ×6, first 2 shown]
	v_add_f64_e32 v[26:27], v[26:27], v[30:31]
	v_add_f64_e32 v[30:31], v[44:45], v[32:33]
	;; [unrolled: 1-line block ×5, first 2 shown]
	v_fma_f64 v[24:25], v[16:17], s[6:7], v[38:39]
	v_fma_f64 v[32:33], v[10:11], s[6:7], v[42:43]
	;; [unrolled: 1-line block ×4, first 2 shown]
	v_mul_f64_e32 v[16:17], s[6:7], v[104:105]
	v_mul_f64_e32 v[18:19], s[12:13], v[34:35]
	v_fma_f64 v[34:35], v[66:67], s[6:7], v[108:109]
	v_fma_f64 v[36:37], v[62:63], s[6:7], v[110:111]
	;; [unrolled: 1-line block ×3, first 2 shown]
	v_add_f64_e32 v[20:21], v[20:21], v[30:31]
	v_add_f64_e32 v[4:5], v[4:5], v[28:29]
	v_mad_i32_i24 v110, 0xffffffb8, v126, v127
	s_delay_alu instid0(VALU_DEP_1)
	v_add_nc_u32_e32 v102, 0x400, v110
	v_add_nc_u32_e32 v104, 0x800, v110
	;; [unrolled: 1-line block ×5, first 2 shown]
	v_fma_f64 v[24:25], v[26:27], s[12:13], v[24:25]
	v_fma_f64 v[28:29], v[12:13], s[12:13], v[32:33]
	;; [unrolled: 1-line block ×8, first 2 shown]
	v_add_f64_e32 v[90:91], v[4:5], v[20:21]
	v_add_f64_e64 v[100:101], v[20:21], -v[4:5]
	v_add_f64_e32 v[92:93], v[24:25], v[38:39]
	v_add_f64_e32 v[111:112], v[28:29], v[14:15]
	;; [unrolled: 1-line block ×4, first 2 shown]
	v_add_f64_e64 v[117:118], v[24:25], -v[38:39]
	v_add_f64_e64 v[119:120], v[28:29], -v[14:15]
	;; [unrolled: 1-line block ×6, first 2 shown]
	v_add_nc_u32_e32 v79, 0x1800, v110
	ds_load_2addr_b64 v[12:15], v110 offset1:90
	v_add_nc_u32_e32 v78, 0x2400, v110
	ds_load_2addr_b64 v[36:39], v102 offset0:52 offset1:142
	ds_load_2addr_b64 v[16:19], v104 offset0:104 offset1:194
	;; [unrolled: 1-line block ×7, first 2 shown]
	global_wb scope:SCOPE_SE
	s_wait_dscnt 0x0
	s_barrier_signal -1
	s_barrier_wait -1
	global_inv scope:SCOPE_SE
	ds_store_b128 v127, v[90:93]
	ds_store_b128 v127, v[111:114] offset:16
	ds_store_b128 v127, v[98:101] offset:32
	;; [unrolled: 1-line block ×4, first 2 shown]
	s_and_saveexec_b32 s1, s0
	s_cbranch_execz .LBB0_17
; %bb.16:
	v_add_f64_e32 v[48:49], v[48:49], v[56:57]
	v_add_f64_e32 v[40:41], v[40:41], v[52:53]
	v_mul_f64_e32 v[52:53], s[2:3], v[66:67]
	v_mul_f64_e32 v[56:57], s[2:3], v[62:63]
	;; [unrolled: 1-line block ×4, first 2 shown]
	s_mov_b32 s2, 0x372fe950
	s_mov_b32 s3, 0xbfd3c6ef
	;; [unrolled: 1-line block ×4, first 2 shown]
	v_add_f64_e32 v[42:43], v[50:51], v[42:43]
	v_add_f64_e32 v[44:45], v[54:55], v[44:45]
	;; [unrolled: 1-line block ×5, first 2 shown]
	v_add_f64_e64 v[46:47], v[46:47], -v[56:57]
	v_mul_f64_e32 v[56:57], s[12:13], v[70:71]
	v_mul_f64_e32 v[58:59], s[12:13], v[74:75]
	s_wait_alu 0xfffe
	v_mul_f64_e32 v[70:71], s[2:3], v[88:89]
	v_mul_f64_e32 v[74:75], s[6:7], v[86:87]
	s_mov_b32 s2, 0x134454ff
	s_mov_b32 s3, 0x3fee6f0e
	;; [unrolled: 1-line block ×4, first 2 shown]
	v_add_f64_e32 v[48:49], v[48:49], v[68:69]
	v_add_f64_e32 v[40:41], v[72:73], v[40:41]
	v_add_f64_e64 v[52:53], v[52:53], -v[62:63]
	v_add_f64_e64 v[46:47], v[46:47], -v[66:67]
	s_wait_alu 0xfffe
	v_fma_f64 v[62:63], v[84:85], s[2:3], v[70:71]
	v_fma_f64 v[66:67], v[82:83], s[6:7], v[74:75]
	v_add_f64_e32 v[60:61], v[60:61], v[48:49]
	v_add_f64_e32 v[64:65], v[64:65], v[40:41]
	;; [unrolled: 1-line block ×4, first 2 shown]
	s_delay_alu instid0(VALU_DEP_3) | instskip(NEXT) | instid1(VALU_DEP_3)
	v_add_f64_e32 v[40:41], v[60:61], v[64:65]
	v_add_f64_e32 v[46:47], v[52:53], v[62:63]
	s_delay_alu instid0(VALU_DEP_3) | instskip(SKIP_4) | instid1(VALU_DEP_1)
	v_add_f64_e32 v[48:49], v[56:57], v[66:67]
	v_add_f64_e64 v[50:51], v[60:61], -v[64:65]
	v_add_f64_e64 v[52:53], v[52:53], -v[62:63]
	;; [unrolled: 1-line block ×3, first 2 shown]
	v_mul_u32_u24_e32 v56, 10, v116
	v_lshl_add_u32 v56, v56, 3, 0
	ds_store_b128 v56, v[40:43]
	ds_store_b128 v56, v[44:47] offset:16
	ds_store_b128 v56, v[48:51] offset:32
	;; [unrolled: 1-line block ×4, first 2 shown]
.LBB0_17:
	s_wait_alu 0xfffe
	s_or_b32 exec_lo, exec_lo, s1
	v_and_b32_e32 v40, 0xff, v126
	global_wb scope:SCOPE_SE
	s_wait_dscnt 0x0
	s_barrier_signal -1
	s_barrier_wait -1
	global_inv scope:SCOPE_SE
	v_mul_lo_u16 v40, 0xcd, v40
	s_mov_b32 s0, 0x667f3bcd
	s_mov_b32 s1, 0x3fe6a09e
	;; [unrolled: 1-line block ×3, first 2 shown]
	s_wait_alu 0xfffe
	s_mov_b32 s16, s0
	v_lshrrev_b16 v40, 11, v40
	s_mov_b32 s2, 0xcf328d46
	s_mov_b32 s3, 0xbfed906b
	;; [unrolled: 1-line block ×3, first 2 shown]
	s_wait_alu 0xfffe
	s_mov_b32 s14, s2
	v_mul_lo_u16 v41, v40, 10
	s_mov_b32 s6, 0xa6aea964
	s_mov_b32 s7, 0x3fd87de2
	;; [unrolled: 1-line block ×3, first 2 shown]
	s_wait_alu 0xfffe
	s_mov_b32 s12, s6
	v_sub_nc_u16 v41, v126, v41
	v_and_b32_e32 v40, 0xffff, v40
	s_delay_alu instid0(VALU_DEP_2) | instskip(NEXT) | instid1(VALU_DEP_2)
	v_and_b32_e32 v41, 0xff, v41
	v_mul_u32_u24_e32 v40, 0xa0, v40
	s_delay_alu instid0(VALU_DEP_2) | instskip(NEXT) | instid1(VALU_DEP_2)
	v_mul_u32_u24_e32 v42, 15, v41
	v_or_b32_e32 v40, v40, v41
	s_delay_alu instid0(VALU_DEP_2)
	v_lshlrev_b32_e32 v50, 4, v42
	s_clause 0xe
	global_load_b128 v[42:45], v50, s[4:5] offset:16
	global_load_b128 v[46:49], v50, s[4:5] offset:32
	;; [unrolled: 1-line block ×13, first 2 shown]
	global_load_b128 v[121:124], v50, s[4:5]
	global_load_b128 v[127:130], v50, s[4:5] offset:128
	ds_load_2addr_b64 v[131:134], v102 offset0:52 offset1:142
	ds_load_2addr_b64 v[135:138], v79 offset0:132 offset1:222
	;; [unrolled: 1-line block ×3, first 2 shown]
	ds_load_2addr_b64 v[56:59], v110 offset1:90
	ds_load_2addr_b64 v[139:142], v104 offset0:104 offset1:194
	ds_load_2addr_b64 v[143:146], v105 offset0:28 offset1:118
	;; [unrolled: 1-line block ×3, first 2 shown]
	s_wait_loadcnt_dscnt 0xe06
	v_mul_f64_e32 v[50:51], v[131:132], v[44:45]
	v_mul_f64_e32 v[44:45], v[36:37], v[44:45]
	s_wait_loadcnt 0xd
	v_mul_f64_e32 v[76:77], v[133:134], v[48:49]
	s_wait_loadcnt 0xc
	v_mul_f64_e32 v[107:108], v[16:17], v[66:67]
	s_wait_loadcnt 0xa
	v_mul_f64_e32 v[153:154], v[20:21], v[74:75]
	v_mul_f64_e32 v[151:152], v[18:19], v[70:71]
	s_wait_loadcnt 0x9
	v_mul_f64_e32 v[155:156], v[22:23], v[82:83]
	s_wait_loadcnt_dscnt 0x705
	v_mul_f64_e32 v[159:160], v[137:138], v[90:91]
	v_mul_f64_e32 v[157:158], v[135:136], v[86:87]
	s_wait_loadcnt 0x6
	v_mul_f64_e32 v[161:162], v[28:29], v[94:95]
	s_wait_loadcnt 0x5
	;; [unrolled: 2-line block ×3, first 2 shown]
	v_mul_f64_e32 v[167:168], v[26:27], v[119:120]
	v_mul_f64_e32 v[165:166], v[24:25], v[113:114]
	s_wait_loadcnt_dscnt 0x204
	v_mul_f64_e32 v[169:170], v[60:61], v[54:55]
	s_wait_loadcnt_dscnt 0x103
	v_mul_f64_e32 v[171:172], v[58:59], v[123:124]
	s_wait_loadcnt 0x0
	v_mul_f64_e32 v[173:174], v[62:63], v[129:130]
	v_mul_f64_e32 v[48:49], v[38:39], v[48:49]
	s_wait_dscnt 0x2
	v_mul_f64_e32 v[66:67], v[139:140], v[66:67]
	v_mul_f64_e32 v[70:71], v[141:142], v[70:71]
	s_wait_dscnt 0x1
	;; [unrolled: 3-line block ×3, first 2 shown]
	v_mul_f64_e32 v[100:101], v[149:150], v[100:101]
	v_mul_f64_e32 v[82:83], v[145:146], v[82:83]
	v_fma_f64 v[50:51], v[36:37], v[42:43], v[50:51]
	v_fma_f64 v[131:132], v[131:132], v[42:43], -v[44:45]
	ds_load_2addr_b64 v[42:45], v78 offset0:108 offset1:198
	v_fma_f64 v[38:39], v[38:39], v[46:47], v[76:77]
	v_mul_f64_e32 v[76:77], v[14:15], v[123:124]
	v_fma_f64 v[36:37], v[139:140], v[64:65], -v[107:108]
	v_fma_f64 v[107:108], v[143:144], v[72:73], -v[153:154]
	v_fma_f64 v[139:140], v[34:35], v[88:89], v[159:160]
	v_mul_f64_e32 v[34:35], v[34:35], v[90:91]
	v_mul_f64_e32 v[90:91], v[147:148], v[94:95]
	v_fma_f64 v[78:79], v[141:142], v[68:69], -v[151:152]
	v_fma_f64 v[123:124], v[145:146], v[80:81], -v[155:156]
	v_fma_f64 v[32:33], v[32:33], v[84:85], v[157:158]
	v_fma_f64 v[94:95], v[147:148], v[92:93], -v[161:162]
	v_fma_f64 v[141:142], v[149:150], v[98:99], -v[163:164]
	v_fma_f64 v[14:15], v[14:15], v[121:122], v[171:172]
	v_fma_f64 v[46:47], v[133:134], v[46:47], -v[48:49]
	v_fma_f64 v[16:17], v[16:17], v[64:65], v[66:67]
	v_fma_f64 v[18:19], v[18:19], v[68:69], v[70:71]
	;; [unrolled: 1-line block ×3, first 2 shown]
	v_fma_f64 v[64:65], v[135:136], v[84:85], -v[86:87]
	v_fma_f64 v[66:67], v[30:31], v[98:99], v[100:101]
	s_wait_dscnt 0x0
	v_mul_f64_e32 v[113:114], v[42:43], v[113:114]
	v_fma_f64 v[143:144], v[44:45], v[117:118], -v[167:168]
	v_mul_f64_e32 v[44:45], v[44:45], v[119:120]
	v_mul_f64_e32 v[119:120], v[10:11], v[129:130]
	v_fma_f64 v[42:43], v[42:43], v[111:112], -v[165:166]
	v_fma_f64 v[129:130], v[8:9], v[52:53], v[169:170]
	v_fma_f64 v[10:11], v[10:11], v[127:128], v[173:174]
	;; [unrolled: 1-line block ×3, first 2 shown]
	global_wb scope:SCOPE_SE
	s_barrier_signal -1
	s_barrier_wait -1
	global_inv scope:SCOPE_SE
	v_fma_f64 v[48:49], v[58:59], v[121:122], -v[76:77]
	v_add_f64_e64 v[72:73], v[38:39], -v[139:140]
	v_fma_f64 v[34:35], v[137:138], v[88:89], -v[34:35]
	v_fma_f64 v[58:59], v[28:29], v[92:93], v[90:91]
	v_add_f64_e64 v[68:69], v[50:51], -v[32:33]
	v_add_f64_e64 v[28:29], v[36:37], -v[94:95]
	;; [unrolled: 1-line block ×3, first 2 shown]
	v_fma_f64 v[24:25], v[24:25], v[111:112], v[113:114]
	v_add_f64_e64 v[74:75], v[123:124], -v[143:144]
	v_fma_f64 v[26:27], v[26:27], v[117:118], v[44:45]
	v_fma_f64 v[62:63], v[62:63], v[127:128], -v[119:120]
	v_add_f64_e64 v[42:43], v[107:108], -v[42:43]
	v_add_f64_e64 v[44:45], v[12:13], -v[129:130]
	v_add_f64_e64 v[10:11], v[14:15], -v[10:11]
	v_add_f64_e64 v[30:31], v[16:17], -v[58:59]
	v_add_f64_e64 v[58:59], v[131:132], -v[64:65]
	v_add_f64_e64 v[64:65], v[18:19], -v[66:67]
	v_add_f64_e64 v[66:67], v[46:47], -v[34:35]
	v_fma_f64 v[50:51], v[50:51], 2.0, -v[68:69]
	v_add_f64_e64 v[24:25], v[20:21], -v[24:25]
	v_add_f64_e32 v[82:83], v[72:73], v[74:75]
	v_add_f64_e64 v[26:27], v[22:23], -v[26:27]
	v_add_f64_e64 v[62:63], v[48:49], -v[62:63]
	v_add_f64_e32 v[84:85], v[68:69], v[42:43]
	v_add_f64_e32 v[76:77], v[44:45], v[28:29]
	;; [unrolled: 1-line block ×3, first 2 shown]
	v_fma_f64 v[12:13], v[12:13], 2.0, -v[44:45]
	v_fma_f64 v[34:35], v[107:108], 2.0, -v[42:43]
	;; [unrolled: 1-line block ×4, first 2 shown]
	v_lshl_add_u32 v108, v40, 3, 0
	v_add_nc_u32_e32 v107, 0x1c00, v110
	v_fma_f64 v[16:17], v[16:17], 2.0, -v[30:31]
	v_fma_f64 v[32:33], v[131:132], 2.0, -v[58:59]
	;; [unrolled: 1-line block ×5, first 2 shown]
	v_add_f64_e64 v[24:25], v[58:59], -v[24:25]
	v_fma_f64 v[22:23], v[22:23], 2.0, -v[26:27]
	v_add_f64_e64 v[86:87], v[62:63], -v[64:65]
	v_fma_f64 v[64:65], v[123:124], 2.0, -v[74:75]
	;; [unrolled: 2-line block ×3, first 2 shown]
	v_fma_f64 v[88:89], v[68:69], 2.0, -v[84:85]
	v_fma_f64 v[10:11], v[10:11], 2.0, -v[80:81]
	;; [unrolled: 1-line block ×5, first 2 shown]
	v_add_f64_e64 v[16:17], v[12:13], -v[16:17]
	v_add_f64_e64 v[34:35], v[32:33], -v[34:35]
	;; [unrolled: 1-line block ×4, first 2 shown]
	v_fma_f64 v[20:21], v[58:59], 2.0, -v[24:25]
	v_fma_f64 v[58:59], v[84:85], s[0:1], v[76:77]
	v_fma_f64 v[90:91], v[62:63], 2.0, -v[86:87]
	v_add_f64_e64 v[64:65], v[46:47], -v[64:65]
	v_fma_f64 v[62:63], v[82:83], s[0:1], v[80:81]
	v_add_f64_e64 v[22:23], v[42:43], -v[22:23]
	v_fma_f64 v[66:67], v[66:67], 2.0, -v[26:27]
	v_fma_f64 v[70:71], v[88:89], s[16:17], v[44:45]
	v_fma_f64 v[74:75], v[72:73], s[16:17], v[10:11]
	v_add_f64_e64 v[92:93], v[48:49], -v[68:69]
	v_fma_f64 v[68:69], v[26:27], s[0:1], v[86:87]
	v_fma_f64 v[12:13], v[12:13], 2.0, -v[16:17]
	v_add_f64_e32 v[94:95], v[16:17], v[34:35]
	v_fma_f64 v[14:15], v[14:15], 2.0, -v[18:19]
	v_fma_f64 v[50:51], v[50:51], 2.0, -v[38:39]
	v_fma_f64 v[98:99], v[24:25], s[0:1], v[58:59]
	v_add_f64_e32 v[111:112], v[18:19], v[64:65]
	v_fma_f64 v[62:63], v[26:27], s[0:1], v[62:63]
	v_fma_f64 v[42:43], v[42:43], 2.0, -v[22:23]
	v_fma_f64 v[26:27], v[66:67], s[16:17], v[90:91]
	v_fma_f64 v[100:101], v[20:21], s[0:1], v[70:71]
	;; [unrolled: 1-line block ×3, first 2 shown]
	v_fma_f64 v[46:47], v[46:47], 2.0, -v[64:65]
	v_fma_f64 v[70:71], v[48:49], 2.0, -v[92:93]
	v_add_f64_e64 v[22:23], v[92:93], -v[22:23]
	v_fma_f64 v[74:75], v[82:83], s[16:17], v[68:69]
	v_fma_f64 v[16:17], v[16:17], 2.0, -v[94:95]
	v_add_f64_e64 v[48:49], v[12:13], -v[50:51]
	v_fma_f64 v[50:51], v[76:77], 2.0, -v[98:99]
	v_fma_f64 v[18:19], v[18:19], 2.0, -v[111:112]
	;; [unrolled: 1-line block ×3, first 2 shown]
	v_add_f64_e64 v[64:65], v[14:15], -v[42:43]
	v_fma_f64 v[76:77], v[72:73], s[16:17], v[26:27]
	v_fma_f64 v[42:43], v[44:45], 2.0, -v[100:101]
	v_fma_f64 v[66:67], v[10:11], 2.0, -v[58:59]
	v_fma_f64 v[26:27], v[111:112], s[0:1], v[94:95]
	v_fma_f64 v[44:45], v[62:63], s[14:15], v[98:99]
	v_add_f64_e64 v[78:79], v[70:71], -v[46:47]
	v_fma_f64 v[10:11], v[92:93], 2.0, -v[22:23]
	v_fma_f64 v[80:81], v[86:87], 2.0, -v[74:75]
	v_fma_f64 v[86:87], v[58:59], s[6:7], v[100:101]
	v_mul_f64_e32 v[92:93], s[0:1], v[88:89]
	v_fma_f64 v[12:13], v[12:13], 2.0, -v[48:49]
	v_fma_f64 v[46:47], v[18:19], s[16:17], v[16:17]
	s_wait_alu 0xfffe
	v_fma_f64 v[72:73], v[68:69], s[12:13], v[50:51]
	v_fma_f64 v[14:15], v[14:15], 2.0, -v[64:65]
	v_fma_f64 v[82:83], v[90:91], 2.0, -v[76:77]
	v_fma_f64 v[90:91], v[66:67], s[2:3], v[42:43]
	v_fma_f64 v[113:114], v[22:23], s[0:1], v[26:27]
	;; [unrolled: 1-line block ×3, first 2 shown]
	v_add_f64_e32 v[44:45], v[48:49], v[78:79]
	v_mul_f64_e32 v[88:89], s[0:1], v[10:11]
	v_fma_f64 v[117:118], v[76:77], s[14:15], v[86:87]
	v_mul_f64_e32 v[86:87], s[0:1], v[111:112]
	v_fma_f64 v[46:47], v[10:11], s[0:1], v[46:47]
	v_fma_f64 v[72:73], v[80:81], s[14:15], v[72:73]
	v_add_f64_e64 v[14:15], v[12:13], -v[14:15]
	v_fma_f64 v[119:120], v[82:83], s[6:7], v[90:91]
	v_fma_f64 v[121:122], v[94:95], 2.0, -v[113:114]
	v_fma_f64 v[123:124], v[98:99], 2.0, -v[26:27]
	;; [unrolled: 1-line block ×3, first 2 shown]
	v_mul_f64_e32 v[94:95], s[0:1], v[84:85]
	v_mul_f64_e32 v[98:99], s[0:1], v[24:25]
	v_fma_f64 v[127:128], v[100:101], 2.0, -v[117:118]
	v_mul_f64_e32 v[100:101], s[0:1], v[20:21]
	v_mul_f64_e32 v[90:91], s[0:1], v[22:23]
	;; [unrolled: 1-line block ×3, first 2 shown]
	v_cmp_gt_u32_e64 s0, 30, v126
	v_fma_f64 v[16:17], v[16:17], 2.0, -v[46:47]
	v_fma_f64 v[50:51], v[50:51], 2.0, -v[72:73]
	v_fma_f64 v[12:13], v[12:13], 2.0, -v[14:15]
	v_fma_f64 v[42:43], v[42:43], 2.0, -v[119:120]
	ds_store_2addr_b64 v108, v[113:114], v[26:27] offset0:140 offset1:150
	ds_store_2addr_b64 v108, v[121:122], v[123:124] offset0:60 offset1:70
	;; [unrolled: 1-line block ×7, first 2 shown]
	ds_store_2addr_b64 v108, v[12:13], v[42:43] offset1:10
	global_wb scope:SCOPE_SE
	s_wait_dscnt 0x0
	s_barrier_signal -1
	s_barrier_wait -1
	global_inv scope:SCOPE_SE
	ds_load_2addr_b64 v[14:17], v110 offset1:90
	ds_load_2addr_b64 v[10:13], v104 offset0:104 offset1:224
	ds_load_2addr_b64 v[44:47], v107 offset0:64 offset1:154
	;; [unrolled: 1-line block ×6, first 2 shown]
	ds_load_b64 v[72:73], v110 offset:10560
	s_and_saveexec_b32 s1, s0
	s_cbranch_execz .LBB0_19
; %bb.18:
	ds_load_b64 v[26:27], v110 offset:3600
	ds_load_b64 v[0:1], v110 offset:7440
	;; [unrolled: 1-line block ×3, first 2 shown]
.LBB0_19:
	s_wait_alu 0xfffe
	s_or_b32 exec_lo, exec_lo, s1
	v_mul_f64_e32 v[8:9], v[8:9], v[54:55]
	v_fma_f64 v[28:29], v[36:37], 2.0, -v[28:29]
	v_fma_f64 v[32:33], v[32:33], 2.0, -v[34:35]
	global_wb scope:SCOPE_SE
	s_wait_dscnt 0x0
	s_barrier_signal -1
	s_barrier_wait -1
	global_inv scope:SCOPE_SE
	v_fma_f64 v[8:9], v[60:61], v[52:53], -v[8:9]
	v_fma_f64 v[60:61], v[70:71], 2.0, -v[78:79]
	s_delay_alu instid0(VALU_DEP_2) | instskip(NEXT) | instid1(VALU_DEP_1)
	v_add_f64_e64 v[8:9], v[56:57], -v[8:9]
	v_add_f64_e64 v[30:31], v[8:9], -v[30:31]
	v_fma_f64 v[36:37], v[56:57], 2.0, -v[8:9]
	s_delay_alu instid0(VALU_DEP_2) | instskip(NEXT) | instid1(VALU_DEP_2)
	v_fma_f64 v[8:9], v[8:9], 2.0, -v[30:31]
	v_add_f64_e64 v[28:29], v[36:37], -v[28:29]
	v_add_f64_e32 v[52:53], v[30:31], v[98:99]
	s_delay_alu instid0(VALU_DEP_3) | instskip(NEXT) | instid1(VALU_DEP_3)
	v_add_f64_e64 v[54:55], v[8:9], -v[100:101]
	v_add_f64_e64 v[38:39], v[28:29], -v[38:39]
	s_delay_alu instid0(VALU_DEP_3) | instskip(SKIP_1) | instid1(VALU_DEP_4)
	v_add_f64_e64 v[52:53], v[52:53], -v[94:95]
	v_fma_f64 v[34:35], v[36:37], 2.0, -v[28:29]
	v_add_f64_e64 v[36:37], v[54:55], -v[92:93]
	s_delay_alu instid0(VALU_DEP_4) | instskip(NEXT) | instid1(VALU_DEP_4)
	v_fma_f64 v[28:29], v[28:29], 2.0, -v[38:39]
	v_fma_f64 v[30:31], v[30:31], 2.0, -v[52:53]
	s_delay_alu instid0(VALU_DEP_4)
	v_add_f64_e64 v[32:33], v[34:35], -v[32:33]
	v_add_f64_e32 v[54:55], v[38:39], v[90:91]
	v_fma_f64 v[56:57], v[74:75], s[14:15], v[52:53]
	v_fma_f64 v[8:9], v[8:9], 2.0, -v[36:37]
	v_add_f64_e64 v[74:75], v[28:29], -v[88:89]
	v_fma_f64 v[78:79], v[80:81], s[12:13], v[30:31]
	v_fma_f64 v[76:77], v[76:77], s[6:7], v[36:37]
	v_fma_f64 v[34:35], v[34:35], 2.0, -v[32:33]
	v_add_f64_e64 v[54:55], v[54:55], -v[86:87]
	v_fma_f64 v[70:71], v[62:63], s[12:13], v[56:57]
	v_add_f64_e64 v[56:57], v[32:33], -v[64:65]
	v_fma_f64 v[80:81], v[82:83], s[2:3], v[8:9]
	;; [unrolled: 2-line block ×3, first 2 shown]
	v_fma_f64 v[58:59], v[58:59], s[2:3], v[76:77]
	v_add_f64_e64 v[60:61], v[34:35], -v[60:61]
	v_fma_f64 v[38:39], v[38:39], 2.0, -v[54:55]
	v_fma_f64 v[52:53], v[52:53], 2.0, -v[70:71]
	;; [unrolled: 1-line block ×3, first 2 shown]
	v_add_nc_u32_e32 v68, 0x800, v110
	v_add_nc_u32_e32 v69, 0x1000, v110
	v_add_nc_u32_e32 v74, 0x400, v110
	v_add_nc_u32_e32 v75, 0x2000, v110
	v_add_nc_u32_e32 v76, 0x1400, v110
	v_fma_f64 v[66:67], v[66:67], s[12:13], v[80:81]
	v_fma_f64 v[28:29], v[28:29], 2.0, -v[62:63]
	v_fma_f64 v[30:31], v[30:31], 2.0, -v[64:65]
	;; [unrolled: 1-line block ×5, first 2 shown]
	ds_store_2addr_b64 v108, v[54:55], v[70:71] offset0:140 offset1:150
	ds_store_2addr_b64 v108, v[38:39], v[52:53] offset0:60 offset1:70
	;; [unrolled: 1-line block ×7, first 2 shown]
	ds_store_2addr_b64 v108, v[34:35], v[8:9] offset1:10
	global_wb scope:SCOPE_SE
	s_wait_dscnt 0x0
	s_barrier_signal -1
	s_barrier_wait -1
	global_inv scope:SCOPE_SE
	ds_load_2addr_b64 v[32:35], v110 offset1:90
	ds_load_2addr_b64 v[28:31], v68 offset0:104 offset1:224
	ds_load_2addr_b64 v[60:63], v107 offset0:64 offset1:154
	;; [unrolled: 1-line block ×6, first 2 shown]
	ds_load_b64 v[8:9], v110 offset:10560
	s_and_saveexec_b32 s1, s0
	s_cbranch_execz .LBB0_21
; %bb.20:
	ds_load_b64 v[70:71], v110 offset:3600
	ds_load_b64 v[4:5], v110 offset:7440
	ds_load_b64 v[6:7], v110 offset:11280
.LBB0_21:
	s_wait_alu 0xfffe
	s_or_b32 exec_lo, exec_lo, s1
	v_dual_mov_b32 v75, 0 :: v_dual_lshlrev_b32 v74, 1, v126
	v_add_nc_u32_e32 v118, 0x10e, v126
	v_add_nc_u32_e32 v119, 0x168, v126
	;; [unrolled: 1-line block ×4, first 2 shown]
	v_cmp_gt_u32_e64 s1, 0x46, v126
	v_and_b32_e32 v77, 0xffff, v118
	v_and_b32_e32 v78, 0xffff, v119
	;; [unrolled: 1-line block ×3, first 2 shown]
	v_lshlrev_b64_e32 v[68:69], 4, v[74:75]
	s_wait_alu 0xf1ff
	v_cndmask_b32_e64 v115, v76, v116, s1
	v_mul_u32_u24_e32 v79, 0xcccd, v77
	v_mov_b32_e32 v77, v75
	v_mul_u32_u24_e32 v78, 0xcccd, v78
	v_add_nc_u32_e32 v74, 40, v74
	v_lshlrev_b32_e32 v76, 1, v115
	v_lshrrev_b32_e32 v159, 23, v79
	v_mul_u32_u24_e32 v79, 0xcccd, v80
	v_lshrrev_b32_e32 v78, 23, v78
	v_add_co_u32 v68, s1, s4, v68
	s_delay_alu instid0(VALU_DEP_4) | instskip(NEXT) | instid1(VALU_DEP_4)
	v_mul_lo_u16 v80, 0xa0, v159
	v_lshrrev_b32_e32 v79, 23, v79
	v_lshlrev_b64_e32 v[76:77], 4, v[76:77]
	v_mul_lo_u16 v78, 0xa0, v78
	v_lshlrev_b64_e32 v[74:75], 4, v[74:75]
	v_sub_nc_u16 v80, v118, v80
	v_mul_lo_u16 v79, 0xa0, v79
	s_wait_alu 0xf1ff
	v_add_co_ci_u32_e64 v69, s1, s5, v69, s1
	v_add_co_u32 v76, s1, s4, v76
	v_sub_nc_u16 v78, v119, v78
	s_wait_alu 0xf1ff
	v_add_co_ci_u32_e64 v77, s1, s5, v77, s1
	v_sub_nc_u16 v79, v117, v79
	v_add_co_u32 v74, s1, s4, v74
	v_and_b32_e32 v160, 0xffff, v80
	s_wait_alu 0xf1ff
	v_add_co_ci_u32_e64 v75, s1, s5, v75, s1
	v_and_b32_e32 v161, 0xffff, v78
	v_and_b32_e32 v162, 0xffff, v79
	v_lshlrev_b32_e32 v78, 5, v160
	s_clause 0x4
	global_load_b128 v[90:93], v[76:77], off offset:2400
	global_load_b128 v[98:101], v[68:69], off offset:2416
	;; [unrolled: 1-line block ×5, first 2 shown]
	v_lshlrev_b32_e32 v74, 5, v161
	v_lshlrev_b32_e32 v75, 5, v162
	s_clause 0x6
	global_load_b128 v[120:123], v[76:77], off offset:2416
	global_load_b128 v[127:130], v78, s[4:5] offset:2400
	global_load_b128 v[131:134], v78, s[4:5] offset:2416
	;; [unrolled: 1-line block ×6, first 2 shown]
	s_mov_b32 s2, 0xe8584caa
	s_mov_b32 s3, 0xbfebb67a
	;; [unrolled: 1-line block ×3, first 2 shown]
	s_wait_alu 0xfffe
	s_mov_b32 s6, s2
	v_cmp_lt_u32_e64 s1, 0x45, v126
	global_wb scope:SCOPE_SE
	s_wait_loadcnt_dscnt 0x0
	s_barrier_signal -1
	s_barrier_wait -1
	global_inv scope:SCOPE_SE
	v_mul_f64_e32 v[76:77], v[60:61], v[100:101]
	v_mul_f64_e32 v[74:75], v[30:31], v[104:105]
	;; [unrolled: 1-line block ×23, first 2 shown]
	v_fma_f64 v[86:87], v[44:45], v[98:99], v[76:77]
	v_fma_f64 v[84:85], v[12:13], v[102:103], v[74:75]
	v_fma_f64 v[44:45], v[50:51], v[106:107], v[78:79]
	v_fma_f64 v[48:49], v[48:49], v[90:91], v[82:83]
	v_mul_f64_e32 v[12:13], v[2:3], v[149:150]
	v_fma_f64 v[78:79], v[46:47], v[120:121], v[88:89]
	v_fma_f64 v[76:77], v[24:25], v[135:136], v[151:152]
	;; [unrolled: 1-line block ×8, first 2 shown]
	v_fma_f64 v[88:89], v[30:31], v[102:103], -v[104:105]
	v_fma_f64 v[30:31], v[60:61], v[98:99], -v[100:101]
	;; [unrolled: 1-line block ×11, first 2 shown]
	v_add_f64_e32 v[0:1], v[84:85], v[86:87]
	v_add_f64_e32 v[90:91], v[18:19], v[44:45]
	;; [unrolled: 1-line block ×3, first 2 shown]
	v_fma_f64 v[58:59], v[6:7], v[147:148], -v[12:13]
	v_add_f64_e32 v[22:23], v[48:49], v[78:79]
	v_add_f64_e32 v[12:13], v[14:15], v[84:85]
	;; [unrolled: 1-line block ×9, first 2 shown]
	v_add_f64_e64 v[24:25], v[88:89], -v[30:31]
	v_add_f64_e64 v[92:93], v[60:61], -v[42:43]
	v_fma_f64 v[0:1], v[0:1], -0.5, v[14:15]
	v_add_f64_e64 v[14:15], v[56:57], -v[50:51]
	v_fma_f64 v[16:17], v[22:23], -0.5, v[16:17]
	v_add_f64_e32 v[12:13], v[12:13], v[86:87]
	v_fma_f64 v[4:5], v[4:5], -0.5, v[10:11]
	v_add_f64_e64 v[10:11], v[66:67], -v[58:59]
	v_fma_f64 v[6:7], v[6:7], -0.5, v[26:27]
	v_fma_f64 v[2:3], v[2:3], -0.5, v[18:19]
	v_add_f64_e64 v[18:19], v[62:63], -v[52:53]
	v_fma_f64 v[8:9], v[8:9], -0.5, v[20:21]
	v_add_f64_e64 v[20:21], v[64:65], -v[54:55]
	v_add_f64_e32 v[104:105], v[98:99], v[80:81]
	v_add_f64_e32 v[106:107], v[100:101], v[82:83]
	;; [unrolled: 1-line block ×5, first 2 shown]
	v_lshl_add_u32 v90, v126, 3, 0
	v_lshl_add_u32 v91, v162, 3, 0
	v_fma_f64 v[108:109], v[24:25], s[2:3], v[0:1]
	s_wait_alu 0xfffe
	v_fma_f64 v[0:1], v[24:25], s[6:7], v[0:1]
	v_fma_f64 v[111:112], v[14:15], s[2:3], v[16:17]
	;; [unrolled: 1-line block ×11, first 2 shown]
	s_wait_alu 0xf1ff
	v_cndmask_b32_e64 v6, 0, 0xf00, s1
	v_lshlrev_b32_e32 v7, 3, v115
	v_lshl_add_u32 v93, v161, 3, 0
	v_add_nc_u32_e32 v10, 0xe00, v90
	s_delay_alu instid0(VALU_DEP_3) | instskip(SKIP_2) | instid1(VALU_DEP_1)
	v_add3_u32 v92, 0, v6, v7
	v_mul_u32_u24_e32 v6, 0xf00, v159
	v_lshlrev_b32_e32 v7, 3, v160
	v_add3_u32 v94, 0, v6, v7
	v_add_nc_u32_e32 v6, 0x1c00, v93
	ds_store_2addr_b64 v110, v[12:13], v[108:109] offset1:160
	ds_store_b64 v110, v[0:1] offset:2560
	ds_store_2addr_b64 v92, v[26:27], v[111:112] offset1:160
	ds_store_b64 v92, v[14:15] offset:2560
	ds_store_2addr_b64 v10, v[22:23], v[24:25] offset0:52 offset1:212
	ds_store_b64 v90, v[2:3] offset:6560
	ds_store_2addr_b64 v94, v[104:105], v[16:17] offset1:160
	ds_store_b64 v94, v[8:9] offset:2560
	ds_store_2addr_b64 v6, v[106:107], v[18:19] offset0:64 offset1:224
	ds_store_b64 v93, v[4:5] offset:10240
	s_and_saveexec_b32 s1, s0
	s_cbranch_execz .LBB0_23
; %bb.22:
	v_add_nc_u32_e32 v0, 0x1c00, v91
	ds_store_2addr_b64 v0, v[98:99], v[100:101] offset0:64 offset1:224
	ds_store_b64 v91, v[102:103] offset:10240
.LBB0_23:
	s_wait_alu 0xfffe
	s_or_b32 exec_lo, exec_lo, s1
	v_add_nc_u32_e32 v4, 0x1c00, v110
	v_add_nc_u32_e32 v0, 0x800, v110
	;; [unrolled: 1-line block ×6, first 2 shown]
	global_wb scope:SCOPE_SE
	s_wait_dscnt 0x0
	s_barrier_signal -1
	s_barrier_wait -1
	global_inv scope:SCOPE_SE
	ds_load_2addr_b64 v[8:11], v110 offset1:90
	ds_load_2addr_b64 v[0:3], v0 offset0:104 offset1:224
	ds_load_2addr_b64 v[24:27], v4 offset0:64 offset1:154
	;; [unrolled: 1-line block ×6, first 2 shown]
	ds_load_b64 v[112:113], v110 offset:10560
	s_and_saveexec_b32 s1, s0
	s_cbranch_execz .LBB0_25
; %bb.24:
	ds_load_b64 v[98:99], v110 offset:3600
	ds_load_b64 v[100:101], v110 offset:7440
	ds_load_b64 v[102:103], v110 offset:11280
.LBB0_25:
	s_wait_alu 0xfffe
	s_or_b32 exec_lo, exec_lo, s1
	v_add_f64_e32 v[104:105], v[88:89], v[30:31]
	v_add_f64_e32 v[122:123], v[66:67], v[58:59]
	;; [unrolled: 1-line block ×7, first 2 shown]
	v_add_f64_e64 v[84:85], v[84:85], -v[86:87]
	v_add_f64_e32 v[56:57], v[34:35], v[56:57]
	v_add_f64_e32 v[66:67], v[70:71], v[66:67]
	v_add_f64_e64 v[46:47], v[46:47], -v[72:73]
	v_add_f64_e64 v[48:49], v[48:49], -v[78:79]
	v_add_f64_e32 v[60:61], v[36:37], v[60:61]
	v_add_f64_e64 v[40:41], v[44:45], -v[40:41]
	v_add_f64_e32 v[62:63], v[38:39], v[62:63]
	;; [unrolled: 2-line block ×3, first 2 shown]
	v_add_f64_e64 v[74:75], v[76:77], -v[82:83]
	s_mov_b32 s2, 0xe8584caa
	s_mov_b32 s3, 0x3febb67a
	;; [unrolled: 1-line block ×3, first 2 shown]
	s_wait_alu 0xfffe
	s_mov_b32 s6, s2
	global_wb scope:SCOPE_SE
	s_wait_dscnt 0x0
	s_barrier_signal -1
	s_barrier_wait -1
	global_inv scope:SCOPE_SE
	v_fma_f64 v[32:33], v[104:105], -0.5, v[32:33]
	v_fma_f64 v[70:71], v[122:123], -0.5, v[70:71]
	;; [unrolled: 1-line block ×6, first 2 shown]
	v_add_f64_e32 v[30:31], v[88:89], v[30:31]
	v_add_f64_e32 v[50:51], v[56:57], v[50:51]
	v_add_f64_e32 v[104:105], v[66:67], v[58:59]
	v_add_f64_e32 v[42:43], v[60:61], v[42:43]
	v_add_f64_e32 v[52:53], v[62:63], v[52:53]
	v_add_f64_e32 v[54:55], v[64:65], v[54:55]
	v_fma_f64 v[56:57], v[84:85], s[2:3], v[32:33]
	v_fma_f64 v[106:107], v[46:47], s[2:3], v[70:71]
	s_wait_alu 0xfffe
	v_fma_f64 v[108:109], v[46:47], s[6:7], v[70:71]
	v_fma_f64 v[32:33], v[84:85], s[6:7], v[32:33]
	;; [unrolled: 1-line block ×10, first 2 shown]
	v_add_nc_u32_e32 v46, 0xe00, v90
	v_add_nc_u32_e32 v47, 0x1c00, v93
	ds_store_2addr_b64 v110, v[30:31], v[56:57] offset1:160
	ds_store_b64 v110, v[32:33] offset:2560
	ds_store_2addr_b64 v92, v[50:51], v[58:59] offset1:160
	ds_store_b64 v92, v[34:35] offset:2560
	ds_store_2addr_b64 v46, v[42:43], v[48:49] offset0:52 offset1:212
	ds_store_b64 v90, v[36:37] offset:6560
	ds_store_2addr_b64 v94, v[52:53], v[40:41] offset1:160
	ds_store_b64 v94, v[38:39] offset:2560
	ds_store_2addr_b64 v47, v[54:55], v[44:45] offset0:64 offset1:224
	ds_store_b64 v93, v[28:29] offset:10240
	s_and_saveexec_b32 s1, s0
	s_cbranch_execz .LBB0_27
; %bb.26:
	v_add_nc_u32_e32 v28, 0x1c00, v91
	ds_store_2addr_b64 v28, v[104:105], v[106:107] offset0:64 offset1:224
	ds_store_b64 v91, v[108:109] offset:10240
.LBB0_27:
	s_wait_alu 0xfffe
	s_or_b32 exec_lo, exec_lo, s1
	v_add_nc_u32_e32 v36, 0x1c00, v110
	v_add_nc_u32_e32 v32, 0x800, v110
	;; [unrolled: 1-line block ×6, first 2 shown]
	global_wb scope:SCOPE_SE
	s_wait_dscnt 0x0
	s_barrier_signal -1
	s_barrier_wait -1
	global_inv scope:SCOPE_SE
	ds_load_2addr_b64 v[28:31], v110 offset1:90
	ds_load_2addr_b64 v[32:35], v32 offset0:104 offset1:224
	ds_load_2addr_b64 v[44:47], v36 offset0:64 offset1:154
	;; [unrolled: 1-line block ×6, first 2 shown]
	ds_load_b64 v[114:115], v110 offset:10560
	s_and_saveexec_b32 s1, s0
	s_cbranch_execz .LBB0_29
; %bb.28:
	ds_load_b64 v[104:105], v110 offset:3600
	ds_load_b64 v[106:107], v110 offset:7440
	;; [unrolled: 1-line block ×3, first 2 shown]
.LBB0_29:
	s_wait_alu 0xfffe
	s_or_b32 exec_lo, exec_lo, s1
	s_and_saveexec_b32 s1, vcc_lo
	s_cbranch_execz .LBB0_32
; %bb.30:
	v_dual_mov_b32 v111, 0 :: v_dual_lshlrev_b32 v110, 1, v119
	v_add_nc_u32_e32 v138, 0x3c0, v126
	v_add_nc_u32_e32 v120, 0xb4, v126
	s_clause 0x1
	global_load_b128 v[80:83], v[68:69], off offset:7536
	global_load_b128 v[84:87], v[68:69], off offset:7520
	v_lshlrev_b64_e32 v[56:57], 4, v[110:111]
	v_mad_co_u64_u32 v[129:130], null, s8, v138, 0
	v_lshlrev_b32_e32 v110, 1, v118
	v_mad_co_u64_u32 v[121:122], null, s8, v126, 0
	s_delay_alu instid0(VALU_DEP_4) | instskip(NEXT) | instid1(VALU_DEP_3)
	v_add_co_u32 v62, vcc_lo, s4, v56
	v_lshlrev_b64_e32 v[58:59], 4, v[110:111]
	v_lshlrev_b32_e32 v110, 1, v120
	s_wait_alu 0xfffd
	v_add_co_ci_u32_e32 v63, vcc_lo, s5, v57, vcc_lo
	v_add_nc_u32_e32 v137, 0x1e0, v126
	v_mul_hi_u32 v125, 0x88888889, v118
	v_lshlrev_b64_e32 v[60:61], 4, v[110:111]
	v_lshlrev_b32_e32 v110, 1, v116
	v_mad_co_u64_u32 v[123:124], null, s8, v116, 0
	v_add_nc_u32_e32 v139, 0x23a, v126
	v_mul_hi_u32 v135, 0x88888889, v119
	v_add_co_u32 v72, vcc_lo, s4, v60
	v_lshlrev_b64_e32 v[64:65], 4, v[110:111]
	s_wait_alu 0xfffd
	v_add_co_ci_u32_e32 v73, vcc_lo, s5, v61, vcc_lo
	v_add_co_u32 v66, vcc_lo, s4, v58
	s_wait_alu 0xfffd
	v_add_co_ci_u32_e32 v67, vcc_lo, s5, v59, vcc_lo
	v_add_co_u32 v88, vcc_lo, s4, v64
	s_wait_alu 0xfffd
	v_add_co_ci_u32_e32 v89, vcc_lo, s5, v65, vcc_lo
	s_clause 0x7
	global_load_b128 v[56:59], v[62:63], off offset:7520
	global_load_b128 v[60:63], v[62:63], off offset:7536
	;; [unrolled: 1-line block ×8, first 2 shown]
	v_add_nc_u32_e32 v140, 0x41a, v126
	v_mul_hi_u32 v141, 0x88888889, v120
	v_mov_b32_e32 v110, v122
	v_mov_b32_e32 v122, v124
	v_mad_co_u64_u32 v[127:128], null, s8, v137, 0
	v_lshrrev_b32_e32 v142, 8, v125
	v_mad_co_u64_u32 v[131:132], null, s8, v139, 0
	v_mad_co_u64_u32 v[133:134], null, s8, v140, 0
	v_lshrrev_b32_e32 v143, 8, v135
	v_mad_co_u64_u32 v[124:125], null, s9, v126, v[110:111]
	v_mov_b32_e32 v125, v130
	v_mad_u32_u24 v155, 0x3c0, v142, v118
	v_mov_b32_e32 v110, v128
	v_lshrrev_b32_e32 v128, 8, v141
	v_mad_co_u64_u32 v[135:136], null, s9, v116, v[122:123]
	s_delay_alu instid0(VALU_DEP_4) | instskip(SKIP_4) | instid1(VALU_DEP_4)
	v_add_nc_u32_e32 v173, 0x1e0, v155
	v_mad_u32_u24 v157, 0x3c0, v143, v119
	v_mov_b32_e32 v116, v132
	v_mad_co_u64_u32 v[118:119], null, s9, v137, v[110:111]
	v_mad_co_u64_u32 v[136:137], null, s9, v138, v[125:126]
	v_add_nc_u32_e32 v175, 0x1e0, v157
	v_mad_u32_u24 v125, 0x3c0, v128, v120
	v_mov_b32_e32 v122, v134
	v_mad_co_u64_u32 v[137:138], null, s9, v139, v[116:117]
	v_mad_co_u64_u32 v[119:120], null, s8, v155, 0
	s_delay_alu instid0(VALU_DEP_4) | instskip(NEXT) | instid1(VALU_DEP_4)
	v_add_nc_u32_e32 v177, 0x1e0, v125
	v_mad_co_u64_u32 v[138:139], null, s9, v140, v[122:123]
	v_mad_co_u64_u32 v[139:140], null, s8, v157, 0
	v_mov_b32_e32 v122, v124
	v_mov_b32_e32 v110, v120
	;; [unrolled: 1-line block ×7, first 2 shown]
	v_add_nc_u32_e32 v174, 0x3c0, v155
	v_mad_co_u64_u32 v[155:156], null, s9, v155, v[110:111]
	v_add_nc_u32_e32 v176, 0x3c0, v157
	s_delay_alu instid0(VALU_DEP_4) | instskip(NEXT) | instid1(VALU_DEP_4)
	v_mad_co_u64_u32 v[156:157], null, s9, v157, v[116:117]
	v_mad_co_u64_u32 v[145:146], null, s8, v174, 0
	;; [unrolled: 1-line block ×3, first 2 shown]
	v_lshlrev_b64_e32 v[121:122], 4, v[121:122]
	v_add_co_u32 v96, vcc_lo, s10, v96
	v_mad_co_u64_u32 v[143:144], null, s8, v173, 0
	s_wait_alu 0xfffd
	v_add_co_ci_u32_e32 v97, vcc_lo, s11, v97, vcc_lo
	v_mad_co_u64_u32 v[147:148], null, s8, v175, 0
	v_mov_b32_e32 v116, v146
	v_add_nc_u32_e32 v178, 0x3c0, v125
	v_mad_co_u64_u32 v[149:150], null, s8, v176, 0
	v_mov_b32_e32 v128, v118
	v_mov_b32_e32 v110, v142
	v_lshlrev_b64_e32 v[123:124], 4, v[123:124]
	v_mad_co_u64_u32 v[151:152], null, s8, v177, 0
	v_mad_co_u64_u32 v[153:154], null, s8, v178, 0
	v_lshlrev_b64_e32 v[127:128], 4, v[127:128]
	v_mov_b32_e32 v118, v144
	v_mov_b32_e32 v120, v148
	v_lshlrev_b64_e32 v[129:130], 4, v[129:130]
	v_lshlrev_b64_e32 v[131:132], 4, v[131:132]
	;; [unrolled: 1-line block ×3, first 2 shown]
	v_mov_b32_e32 v140, v156
	s_mov_b32 s2, 0xe8584caa
	s_mov_b32 s3, 0xbfebb67a
	;; [unrolled: 1-line block ×3, first 2 shown]
	s_wait_alu 0xfffe
	s_mov_b32 s6, s2
	s_wait_loadcnt 0x9
	v_mul_f64_e32 v[135:136], v[24:25], v[82:83]
	s_wait_dscnt 0x5
	v_mul_f64_e32 v[82:83], v[44:45], v[82:83]
	s_wait_loadcnt 0x8
	v_mul_f64_e32 v[137:138], v[2:3], v[86:87]
	v_mul_f64_e32 v[86:87], v[34:35], v[86:87]
	s_wait_loadcnt 0x5
	v_mul_f64_e32 v[161:162], v[20:21], v[70:71]
	s_wait_loadcnt 0x4
	;; [unrolled: 2-line block ×3, first 2 shown]
	v_mul_f64_e32 v[165:166], v[18:19], v[78:79]
	v_mul_f64_e32 v[157:158], v[22:23], v[58:59]
	;; [unrolled: 1-line block ×3, first 2 shown]
	s_wait_loadcnt 0x1
	v_mul_f64_e32 v[169:170], v[26:27], v[94:95]
	v_mul_f64_e32 v[94:95], v[46:47], v[94:95]
	s_wait_loadcnt 0x0
	v_mul_f64_e32 v[171:172], v[16:17], v[90:91]
	s_wait_dscnt 0x4
	v_mul_f64_e32 v[90:91], v[40:41], v[90:91]
	v_mul_f64_e32 v[167:168], v[12:13], v[74:75]
	;; [unrolled: 1-line block ×3, first 2 shown]
	s_wait_dscnt 0x2
	v_mul_f64_e32 v[74:75], v[48:49], v[74:75]
	s_wait_dscnt 0x1
	v_mul_f64_e32 v[70:71], v[52:53], v[70:71]
	v_mul_f64_e32 v[66:67], v[50:51], v[66:67]
	;; [unrolled: 1-line block ×3, first 2 shown]
	s_wait_dscnt 0x0
	v_mul_f64_e32 v[62:63], v[114:115], v[62:63]
	v_fma_f64 v[44:45], v[44:45], v[80:81], -v[135:136]
	v_fma_f64 v[24:25], v[24:25], v[80:81], v[82:83]
	v_fma_f64 v[34:35], v[34:35], v[84:85], -v[137:138]
	v_fma_f64 v[2:3], v[2:3], v[84:85], v[86:87]
	v_add_co_u32 v80, vcc_lo, v96, v121
	s_wait_alu 0xfffd
	v_add_co_ci_u32_e32 v81, vcc_lo, v97, v122, vcc_lo
	v_mad_co_u64_u32 v[121:122], null, s9, v174, v[116:117]
	v_mad_co_u64_u32 v[85:86], null, s9, v125, v[110:111]
	v_add_co_u32 v82, vcc_lo, v96, v123
	v_mov_b32_e32 v84, v150
	s_wait_alu 0xfffd
	v_add_co_ci_u32_e32 v83, vcc_lo, v97, v124, vcc_lo
	v_mad_co_u64_u32 v[86:87], null, s9, v173, v[118:119]
	v_mov_b32_e32 v87, v152
	v_mad_co_u64_u32 v[122:123], null, s9, v175, v[120:121]
	v_fma_f64 v[52:53], v[52:53], v[68:69], -v[161:162]
	v_fma_f64 v[50:51], v[50:51], v[64:65], -v[163:164]
	;; [unrolled: 1-line block ×6, first 2 shown]
	v_fma_f64 v[26:27], v[26:27], v[92:93], v[94:95]
	v_fma_f64 v[40:41], v[40:41], v[88:89], -v[171:172]
	v_fma_f64 v[16:17], v[16:17], v[88:89], v[90:91]
	v_fma_f64 v[48:49], v[48:49], v[72:73], -v[167:168]
	v_fma_f64 v[18:19], v[18:19], v[76:77], v[78:79]
	v_fma_f64 v[12:13], v[12:13], v[72:73], v[74:75]
	;; [unrolled: 1-line block ×6, first 2 shown]
	v_add_co_u32 v88, vcc_lo, v96, v127
	v_mad_co_u64_u32 v[123:124], null, s9, v176, v[84:85]
	v_mov_b32_e32 v84, v154
	v_add_f64_e32 v[69:70], v[34:35], v[44:45]
	v_add_f64_e32 v[71:72], v[2:3], v[24:25]
	v_mad_co_u64_u32 v[58:59], null, s9, v177, v[87:88]
	s_delay_alu instid0(VALU_DEP_4)
	v_mad_co_u64_u32 v[66:67], null, s9, v178, v[84:85]
	v_mov_b32_e32 v142, v85
	v_mov_b32_e32 v144, v86
	s_wait_alu 0xfffd
	v_add_co_ci_u32_e32 v89, vcc_lo, v97, v128, vcc_lo
	v_mov_b32_e32 v152, v58
	v_add_co_u32 v60, vcc_lo, v96, v129
	s_wait_alu 0xfffd
	v_add_co_ci_u32_e32 v61, vcc_lo, v97, v130, vcc_lo
	v_mov_b32_e32 v148, v122
	v_add_co_u32 v62, vcc_lo, v96, v131
	v_add_f64_e32 v[75:76], v[52:53], v[50:51]
	v_mov_b32_e32 v120, v155
	v_mov_b32_e32 v146, v121
	v_add_f64_e32 v[73:74], v[54:55], v[114:115]
	s_wait_alu 0xfffd
	v_add_co_ci_u32_e32 v63, vcc_lo, v97, v132, vcc_lo
	v_add_f64_e32 v[84:85], v[40:41], v[46:47]
	v_add_f64_e32 v[86:87], v[16:17], v[26:27]
	;; [unrolled: 1-line block ×3, first 2 shown]
	v_mov_b32_e32 v150, v123
	v_add_f64_e32 v[94:95], v[18:19], v[12:13]
	v_add_co_u32 v64, vcc_lo, v96, v133
	v_add_f64_e32 v[58:59], v[20:21], v[14:15]
	v_add_f64_e32 v[112:113], v[22:23], v[56:57]
	;; [unrolled: 1-line block ×4, first 2 shown]
	v_lshlrev_b64_e32 v[122:123], 4, v[147:148]
	v_add_f64_e64 v[127:128], v[2:3], -v[24:25]
	v_add_f64_e64 v[34:35], v[34:35], -v[44:45]
	v_add_f64_e32 v[147:148], v[10:11], v[16:17]
	v_fma_f64 v[28:29], v[69:70], -0.5, v[28:29]
	v_fma_f64 v[69:70], v[71:72], -0.5, v[8:9]
	s_wait_alu 0xfffd
	v_add_co_ci_u32_e32 v65, vcc_lo, v97, v134, vcc_lo
	v_add_f64_e64 v[133:134], v[22:23], -v[56:57]
	v_add_f64_e32 v[22:23], v[0:1], v[22:23]
	v_add_f64_e64 v[137:138], v[20:21], -v[14:15]
	v_add_f64_e32 v[20:21], v[6:7], v[20:21]
	v_lshlrev_b64_e32 v[67:68], 4, v[119:120]
	v_lshlrev_b64_e32 v[118:119], 4, v[143:144]
	;; [unrolled: 1-line block ×3, first 2 shown]
	v_add_f64_e32 v[143:144], v[4:5], v[18:19]
	v_add_f64_e64 v[145:146], v[18:19], -v[12:13]
	v_add_f64_e32 v[18:19], v[30:31], v[40:41]
	v_lshlrev_b64_e32 v[90:91], 4, v[139:140]
	v_lshlrev_b64_e32 v[92:93], 4, v[141:142]
	v_lshlrev_b64_e32 v[124:125], 4, v[149:150]
	v_add_f64_e32 v[135:136], v[32:33], v[54:55]
	v_add_f64_e32 v[139:140], v[38:39], v[52:53]
	;; [unrolled: 1-line block ×3, first 2 shown]
	v_add_f64_e64 v[149:150], v[16:17], -v[26:27]
	v_add_f64_e64 v[40:41], v[40:41], -v[46:47]
	v_fma_f64 v[32:33], v[73:74], -0.5, v[32:33]
	v_fma_f64 v[71:72], v[75:76], -0.5, v[38:39]
	;; [unrolled: 1-line block ×5, first 2 shown]
	v_add_f64_e64 v[77:78], v[42:43], -v[48:49]
	v_fma_f64 v[84:85], v[94:95], -0.5, v[4:5]
	v_add_f64_e64 v[94:95], v[52:53], -v[50:51]
	v_fma_f64 v[155:156], v[58:59], -0.5, v[6:7]
	;; [unrolled: 2-line block ×3, first 2 shown]
	v_add_f64_e32 v[2:3], v[129:130], v[44:45]
	v_add_f64_e32 v[0:1], v[131:132], v[24:25]
	v_mov_b32_e32 v154, v66
	v_add_co_u32 v66, vcc_lo, v96, v67
	v_add_f64_e32 v[16:17], v[147:148], v[26:27]
	s_wait_alu 0xfffe
	v_fma_f64 v[26:27], v[127:128], s[6:7], v[28:29]
	v_fma_f64 v[24:25], v[34:35], s[2:3], v[69:70]
	s_wait_alu 0xfffd
	v_add_co_ci_u32_e32 v67, vcc_lo, v97, v68, vcc_lo
	v_add_f64_e32 v[4:5], v[22:23], v[56:57]
	v_fma_f64 v[22:23], v[127:128], s[2:3], v[28:29]
	v_add_f64_e32 v[8:9], v[20:21], v[14:15]
	v_fma_f64 v[20:21], v[34:35], s[6:7], v[69:70]
	v_add_co_u32 v90, vcc_lo, v96, v90
	v_add_f64_e32 v[12:13], v[143:144], v[12:13]
	s_wait_alu 0xfffd
	v_add_co_ci_u32_e32 v91, vcc_lo, v97, v91, vcc_lo
	v_add_f64_e32 v[18:19], v[18:19], v[46:47]
	v_add_co_u32 v92, vcc_lo, v96, v92
	v_add_f64_e32 v[6:7], v[135:136], v[114:115]
	v_add_f64_e32 v[10:11], v[139:140], v[50:51]
	v_add_f64_e32 v[14:15], v[141:142], v[48:49]
	s_wait_alu 0xfffd
	v_add_co_ci_u32_e32 v93, vcc_lo, v97, v93, vcc_lo
	v_fma_f64 v[30:31], v[133:134], s[2:3], v[32:33]
	v_fma_f64 v[58:59], v[137:138], s[6:7], v[71:72]
	;; [unrolled: 1-line block ×16, first 2 shown]
	v_add_co_u32 v68, vcc_lo, v96, v118
	s_wait_alu 0xfffd
	v_add_co_ci_u32_e32 v69, vcc_lo, v97, v119, vcc_lo
	v_add_co_u32 v70, vcc_lo, v96, v120
	s_wait_alu 0xfffd
	v_add_co_ci_u32_e32 v71, vcc_lo, v97, v121, vcc_lo
	v_lshlrev_b64_e32 v[151:152], 4, v[151:152]
	v_add_co_u32 v72, vcc_lo, v96, v122
	s_wait_alu 0xfffd
	v_add_co_ci_u32_e32 v73, vcc_lo, v97, v123, vcc_lo
	v_lshlrev_b64_e32 v[153:154], 4, v[153:154]
	v_add_co_u32 v74, vcc_lo, v96, v124
	s_wait_alu 0xfffd
	v_add_co_ci_u32_e32 v75, vcc_lo, v97, v125, vcc_lo
	v_add_co_u32 v76, vcc_lo, v96, v151
	s_wait_alu 0xfffd
	v_add_co_ci_u32_e32 v77, vcc_lo, v97, v152, vcc_lo
	;; [unrolled: 3-line block ×3, first 2 shown]
	s_clause 0xe
	global_store_b128 v[80:81], v[0:3], off
	global_store_b128 v[88:89], v[24:27], off
	;; [unrolled: 1-line block ×15, first 2 shown]
	s_and_b32 exec_lo, exec_lo, s0
	s_cbranch_execz .LBB0_32
; %bb.31:
	v_subrev_nc_u32_e32 v0, 30, v126
	v_add_nc_u32_e32 v30, 0x3a2, v126
	v_mad_co_u64_u32 v[24:25], null, s8, v117, 0
	s_delay_alu instid0(VALU_DEP_3) | instskip(NEXT) | instid1(VALU_DEP_3)
	v_cndmask_b32_e64 v0, v0, v117, s0
	v_mad_co_u64_u32 v[26:27], null, s8, v30, 0
	v_add_nc_u32_e32 v31, 0x582, v126
	s_delay_alu instid0(VALU_DEP_1) | instskip(NEXT) | instid1(VALU_DEP_4)
	v_mad_co_u64_u32 v[28:29], null, s8, v31, 0
	v_lshlrev_b32_e32 v110, 1, v0
	s_delay_alu instid0(VALU_DEP_1) | instskip(NEXT) | instid1(VALU_DEP_1)
	v_lshlrev_b64_e32 v[0:1], 4, v[110:111]
	v_add_co_u32 v4, vcc_lo, s4, v0
	s_wait_alu 0xfffd
	s_delay_alu instid0(VALU_DEP_2)
	v_add_co_ci_u32_e32 v5, vcc_lo, s5, v1, vcc_lo
	s_clause 0x1
	global_load_b128 v[0:3], v[4:5], off offset:7520
	global_load_b128 v[4:7], v[4:5], off offset:7536
	s_wait_loadcnt 0x1
	v_mul_f64_e32 v[8:9], v[106:107], v[2:3]
	s_wait_loadcnt 0x0
	v_mul_f64_e32 v[10:11], v[108:109], v[6:7]
	v_mul_f64_e32 v[2:3], v[100:101], v[2:3]
	;; [unrolled: 1-line block ×3, first 2 shown]
	s_delay_alu instid0(VALU_DEP_4) | instskip(NEXT) | instid1(VALU_DEP_4)
	v_fma_f64 v[8:9], v[100:101], v[0:1], v[8:9]
	v_fma_f64 v[10:11], v[102:103], v[4:5], v[10:11]
	s_delay_alu instid0(VALU_DEP_4) | instskip(NEXT) | instid1(VALU_DEP_4)
	v_fma_f64 v[0:1], v[106:107], v[0:1], -v[2:3]
	v_fma_f64 v[2:3], v[108:109], v[4:5], -v[6:7]
	s_delay_alu instid0(VALU_DEP_4) | instskip(NEXT) | instid1(VALU_DEP_4)
	v_add_f64_e32 v[12:13], v[98:99], v[8:9]
	v_add_f64_e32 v[4:5], v[8:9], v[10:11]
	s_delay_alu instid0(VALU_DEP_4) | instskip(NEXT) | instid1(VALU_DEP_4)
	v_add_f64_e32 v[16:17], v[104:105], v[0:1]
	v_add_f64_e32 v[6:7], v[0:1], v[2:3]
	v_add_f64_e64 v[14:15], v[0:1], -v[2:3]
	v_add_f64_e64 v[20:21], v[8:9], -v[10:11]
	v_add_f64_e32 v[0:1], v[12:13], v[10:11]
	v_mov_b32_e32 v13, v29
	v_fma_f64 v[18:19], v[4:5], -0.5, v[98:99]
	v_fma_f64 v[22:23], v[6:7], -0.5, v[104:105]
	v_add_f64_e32 v[2:3], v[16:17], v[2:3]
	v_mov_b32_e32 v12, v27
	s_delay_alu instid0(VALU_DEP_4) | instskip(NEXT) | instid1(VALU_DEP_4)
	v_fma_f64 v[4:5], v[14:15], s[2:3], v[18:19]
	v_fma_f64 v[6:7], v[20:21], s[6:7], v[22:23]
	;; [unrolled: 1-line block ×4, first 2 shown]
	v_mad_co_u64_u32 v[14:15], null, s9, v117, v[25:26]
	s_delay_alu instid0(VALU_DEP_1) | instskip(SKIP_2) | instid1(VALU_DEP_2)
	v_mov_b32_e32 v25, v14
	v_mad_co_u64_u32 v[15:16], null, s9, v30, v[12:13]
	v_mad_co_u64_u32 v[12:13], null, s9, v31, v[13:14]
	v_mov_b32_e32 v27, v15
	s_delay_alu instid0(VALU_DEP_2) | instskip(SKIP_1) | instid1(VALU_DEP_3)
	v_mov_b32_e32 v29, v12
	v_lshlrev_b64_e32 v[12:13], 4, v[24:25]
	v_lshlrev_b64_e32 v[14:15], 4, v[26:27]
	s_delay_alu instid0(VALU_DEP_3) | instskip(NEXT) | instid1(VALU_DEP_3)
	v_lshlrev_b64_e32 v[16:17], 4, v[28:29]
	v_add_co_u32 v12, vcc_lo, v96, v12
	s_wait_alu 0xfffd
	s_delay_alu instid0(VALU_DEP_4) | instskip(NEXT) | instid1(VALU_DEP_4)
	v_add_co_ci_u32_e32 v13, vcc_lo, v97, v13, vcc_lo
	v_add_co_u32 v14, vcc_lo, v96, v14
	s_wait_alu 0xfffd
	v_add_co_ci_u32_e32 v15, vcc_lo, v97, v15, vcc_lo
	v_add_co_u32 v16, vcc_lo, v96, v16
	s_wait_alu 0xfffd
	v_add_co_ci_u32_e32 v17, vcc_lo, v97, v17, vcc_lo
	s_clause 0x2
	global_store_b128 v[12:13], v[0:3], off
	global_store_b128 v[14:15], v[4:7], off
	;; [unrolled: 1-line block ×3, first 2 shown]
.LBB0_32:
	s_nop 0
	s_sendmsg sendmsg(MSG_DEALLOC_VGPRS)
	s_endpgm
	.section	.rodata,"a",@progbits
	.p2align	6, 0x0
	.amdhsa_kernel fft_rtc_back_len1440_factors_10_16_3_3_wgs_90_tpt_90_halfLds_dp_ip_CI_sbrr_dirReg
		.amdhsa_group_segment_fixed_size 0
		.amdhsa_private_segment_fixed_size 0
		.amdhsa_kernarg_size 88
		.amdhsa_user_sgpr_count 2
		.amdhsa_user_sgpr_dispatch_ptr 0
		.amdhsa_user_sgpr_queue_ptr 0
		.amdhsa_user_sgpr_kernarg_segment_ptr 1
		.amdhsa_user_sgpr_dispatch_id 0
		.amdhsa_user_sgpr_private_segment_size 0
		.amdhsa_wavefront_size32 1
		.amdhsa_uses_dynamic_stack 0
		.amdhsa_enable_private_segment 0
		.amdhsa_system_sgpr_workgroup_id_x 1
		.amdhsa_system_sgpr_workgroup_id_y 0
		.amdhsa_system_sgpr_workgroup_id_z 0
		.amdhsa_system_sgpr_workgroup_info 0
		.amdhsa_system_vgpr_workitem_id 0
		.amdhsa_next_free_vgpr 179
		.amdhsa_next_free_sgpr 35
		.amdhsa_reserve_vcc 1
		.amdhsa_float_round_mode_32 0
		.amdhsa_float_round_mode_16_64 0
		.amdhsa_float_denorm_mode_32 3
		.amdhsa_float_denorm_mode_16_64 3
		.amdhsa_fp16_overflow 0
		.amdhsa_workgroup_processor_mode 1
		.amdhsa_memory_ordered 1
		.amdhsa_forward_progress 0
		.amdhsa_round_robin_scheduling 0
		.amdhsa_exception_fp_ieee_invalid_op 0
		.amdhsa_exception_fp_denorm_src 0
		.amdhsa_exception_fp_ieee_div_zero 0
		.amdhsa_exception_fp_ieee_overflow 0
		.amdhsa_exception_fp_ieee_underflow 0
		.amdhsa_exception_fp_ieee_inexact 0
		.amdhsa_exception_int_div_zero 0
	.end_amdhsa_kernel
	.text
.Lfunc_end0:
	.size	fft_rtc_back_len1440_factors_10_16_3_3_wgs_90_tpt_90_halfLds_dp_ip_CI_sbrr_dirReg, .Lfunc_end0-fft_rtc_back_len1440_factors_10_16_3_3_wgs_90_tpt_90_halfLds_dp_ip_CI_sbrr_dirReg
                                        ; -- End function
	.section	.AMDGPU.csdata,"",@progbits
; Kernel info:
; codeLenInByte = 12684
; NumSgprs: 37
; NumVgprs: 179
; ScratchSize: 0
; MemoryBound: 1
; FloatMode: 240
; IeeeMode: 1
; LDSByteSize: 0 bytes/workgroup (compile time only)
; SGPRBlocks: 4
; VGPRBlocks: 22
; NumSGPRsForWavesPerEU: 37
; NumVGPRsForWavesPerEU: 179
; Occupancy: 8
; WaveLimiterHint : 1
; COMPUTE_PGM_RSRC2:SCRATCH_EN: 0
; COMPUTE_PGM_RSRC2:USER_SGPR: 2
; COMPUTE_PGM_RSRC2:TRAP_HANDLER: 0
; COMPUTE_PGM_RSRC2:TGID_X_EN: 1
; COMPUTE_PGM_RSRC2:TGID_Y_EN: 0
; COMPUTE_PGM_RSRC2:TGID_Z_EN: 0
; COMPUTE_PGM_RSRC2:TIDIG_COMP_CNT: 0
	.text
	.p2alignl 7, 3214868480
	.fill 96, 4, 3214868480
	.type	__hip_cuid_c034bac66195fa1f,@object ; @__hip_cuid_c034bac66195fa1f
	.section	.bss,"aw",@nobits
	.globl	__hip_cuid_c034bac66195fa1f
__hip_cuid_c034bac66195fa1f:
	.byte	0                               ; 0x0
	.size	__hip_cuid_c034bac66195fa1f, 1

	.ident	"AMD clang version 19.0.0git (https://github.com/RadeonOpenCompute/llvm-project roc-6.4.0 25133 c7fe45cf4b819c5991fe208aaa96edf142730f1d)"
	.section	".note.GNU-stack","",@progbits
	.addrsig
	.addrsig_sym __hip_cuid_c034bac66195fa1f
	.amdgpu_metadata
---
amdhsa.kernels:
  - .args:
      - .actual_access:  read_only
        .address_space:  global
        .offset:         0
        .size:           8
        .value_kind:     global_buffer
      - .offset:         8
        .size:           8
        .value_kind:     by_value
      - .actual_access:  read_only
        .address_space:  global
        .offset:         16
        .size:           8
        .value_kind:     global_buffer
      - .actual_access:  read_only
        .address_space:  global
        .offset:         24
        .size:           8
        .value_kind:     global_buffer
      - .offset:         32
        .size:           8
        .value_kind:     by_value
      - .actual_access:  read_only
        .address_space:  global
        .offset:         40
        .size:           8
        .value_kind:     global_buffer
      - .actual_access:  read_only
        .address_space:  global
        .offset:         48
        .size:           8
        .value_kind:     global_buffer
      - .offset:         56
        .size:           4
        .value_kind:     by_value
      - .actual_access:  read_only
        .address_space:  global
        .offset:         64
        .size:           8
        .value_kind:     global_buffer
      - .actual_access:  read_only
        .address_space:  global
        .offset:         72
        .size:           8
        .value_kind:     global_buffer
      - .address_space:  global
        .offset:         80
        .size:           8
        .value_kind:     global_buffer
    .group_segment_fixed_size: 0
    .kernarg_segment_align: 8
    .kernarg_segment_size: 88
    .language:       OpenCL C
    .language_version:
      - 2
      - 0
    .max_flat_workgroup_size: 90
    .name:           fft_rtc_back_len1440_factors_10_16_3_3_wgs_90_tpt_90_halfLds_dp_ip_CI_sbrr_dirReg
    .private_segment_fixed_size: 0
    .sgpr_count:     37
    .sgpr_spill_count: 0
    .symbol:         fft_rtc_back_len1440_factors_10_16_3_3_wgs_90_tpt_90_halfLds_dp_ip_CI_sbrr_dirReg.kd
    .uniform_work_group_size: 1
    .uses_dynamic_stack: false
    .vgpr_count:     179
    .vgpr_spill_count: 0
    .wavefront_size: 32
    .workgroup_processor_mode: 1
amdhsa.target:   amdgcn-amd-amdhsa--gfx1201
amdhsa.version:
  - 1
  - 2
...

	.end_amdgpu_metadata
